;; amdgpu-corpus repo=ROCm/rocFFT kind=compiled arch=gfx1030 opt=O3
	.text
	.amdgcn_target "amdgcn-amd-amdhsa--gfx1030"
	.amdhsa_code_object_version 6
	.protected	fft_rtc_back_len1820_factors_10_13_7_2_wgs_182_tpt_182_halfLds_dp_op_CI_CI_sbrr_dirReg ; -- Begin function fft_rtc_back_len1820_factors_10_13_7_2_wgs_182_tpt_182_halfLds_dp_op_CI_CI_sbrr_dirReg
	.globl	fft_rtc_back_len1820_factors_10_13_7_2_wgs_182_tpt_182_halfLds_dp_op_CI_CI_sbrr_dirReg
	.p2align	8
	.type	fft_rtc_back_len1820_factors_10_13_7_2_wgs_182_tpt_182_halfLds_dp_op_CI_CI_sbrr_dirReg,@function
fft_rtc_back_len1820_factors_10_13_7_2_wgs_182_tpt_182_halfLds_dp_op_CI_CI_sbrr_dirReg: ; @fft_rtc_back_len1820_factors_10_13_7_2_wgs_182_tpt_182_halfLds_dp_op_CI_CI_sbrr_dirReg
; %bb.0:
	s_clause 0x2
	s_load_dwordx4 s[16:19], s[4:5], 0x18
	s_load_dwordx4 s[12:15], s[4:5], 0x0
	;; [unrolled: 1-line block ×3, first 2 shown]
	v_mul_u32_u24_e32 v2, 0x169, v0
	v_mov_b32_e32 v1, 0
	v_mov_b32_e32 v4, 0
	;; [unrolled: 1-line block ×3, first 2 shown]
	s_waitcnt lgkmcnt(0)
	s_load_dwordx2 s[20:21], s[16:17], 0x0
	s_load_dwordx2 s[2:3], s[18:19], 0x0
	v_cmp_lt_u64_e64 s0, s[14:15], 2
	v_add_nc_u32_sdwa v6, s6, v2 dst_sel:DWORD dst_unused:UNUSED_PAD src0_sel:DWORD src1_sel:WORD_1
	v_mov_b32_e32 v7, v1
	s_and_b32 vcc_lo, exec_lo, s0
	s_cbranch_vccnz .LBB0_8
; %bb.1:
	s_load_dwordx2 s[0:1], s[4:5], 0x10
	v_mov_b32_e32 v4, 0
	v_mov_b32_e32 v5, 0
	s_add_u32 s6, s18, 8
	s_addc_u32 s7, s19, 0
	s_add_u32 s22, s16, 8
	s_addc_u32 s23, s17, 0
	v_mov_b32_e32 v63, v5
	v_mov_b32_e32 v62, v4
	s_mov_b64 s[26:27], 1
	s_waitcnt lgkmcnt(0)
	s_add_u32 s24, s0, 8
	s_addc_u32 s25, s1, 0
.LBB0_2:                                ; =>This Inner Loop Header: Depth=1
	s_load_dwordx2 s[28:29], s[24:25], 0x0
                                        ; implicit-def: $vgpr66_vgpr67
	s_mov_b32 s0, exec_lo
	s_waitcnt lgkmcnt(0)
	v_or_b32_e32 v2, s29, v7
	v_cmpx_ne_u64_e32 0, v[1:2]
	s_xor_b32 s1, exec_lo, s0
	s_cbranch_execz .LBB0_4
; %bb.3:                                ;   in Loop: Header=BB0_2 Depth=1
	v_cvt_f32_u32_e32 v2, s28
	v_cvt_f32_u32_e32 v3, s29
	s_sub_u32 s0, 0, s28
	s_subb_u32 s30, 0, s29
	v_fmac_f32_e32 v2, 0x4f800000, v3
	v_rcp_f32_e32 v2, v2
	v_mul_f32_e32 v2, 0x5f7ffffc, v2
	v_mul_f32_e32 v3, 0x2f800000, v2
	v_trunc_f32_e32 v3, v3
	v_fmac_f32_e32 v2, 0xcf800000, v3
	v_cvt_u32_f32_e32 v3, v3
	v_cvt_u32_f32_e32 v2, v2
	v_mul_lo_u32 v8, s0, v3
	v_mul_hi_u32 v9, s0, v2
	v_mul_lo_u32 v10, s30, v2
	v_add_nc_u32_e32 v8, v9, v8
	v_mul_lo_u32 v9, s0, v2
	v_add_nc_u32_e32 v8, v8, v10
	v_mul_hi_u32 v10, v2, v9
	v_mul_lo_u32 v11, v2, v8
	v_mul_hi_u32 v12, v2, v8
	v_mul_hi_u32 v13, v3, v9
	v_mul_lo_u32 v9, v3, v9
	v_mul_hi_u32 v14, v3, v8
	v_mul_lo_u32 v8, v3, v8
	v_add_co_u32 v10, vcc_lo, v10, v11
	v_add_co_ci_u32_e32 v11, vcc_lo, 0, v12, vcc_lo
	v_add_co_u32 v9, vcc_lo, v10, v9
	v_add_co_ci_u32_e32 v9, vcc_lo, v11, v13, vcc_lo
	v_add_co_ci_u32_e32 v10, vcc_lo, 0, v14, vcc_lo
	v_add_co_u32 v8, vcc_lo, v9, v8
	v_add_co_ci_u32_e32 v9, vcc_lo, 0, v10, vcc_lo
	v_add_co_u32 v2, vcc_lo, v2, v8
	v_add_co_ci_u32_e32 v3, vcc_lo, v3, v9, vcc_lo
	v_mul_hi_u32 v8, s0, v2
	v_mul_lo_u32 v10, s30, v2
	v_mul_lo_u32 v9, s0, v3
	v_add_nc_u32_e32 v8, v8, v9
	v_mul_lo_u32 v9, s0, v2
	v_add_nc_u32_e32 v8, v8, v10
	v_mul_hi_u32 v10, v2, v9
	v_mul_lo_u32 v11, v2, v8
	v_mul_hi_u32 v12, v2, v8
	v_mul_hi_u32 v13, v3, v9
	v_mul_lo_u32 v9, v3, v9
	v_mul_hi_u32 v14, v3, v8
	v_mul_lo_u32 v8, v3, v8
	v_add_co_u32 v10, vcc_lo, v10, v11
	v_add_co_ci_u32_e32 v11, vcc_lo, 0, v12, vcc_lo
	v_add_co_u32 v9, vcc_lo, v10, v9
	v_add_co_ci_u32_e32 v9, vcc_lo, v11, v13, vcc_lo
	v_add_co_ci_u32_e32 v10, vcc_lo, 0, v14, vcc_lo
	v_add_co_u32 v8, vcc_lo, v9, v8
	v_add_co_ci_u32_e32 v9, vcc_lo, 0, v10, vcc_lo
	v_add_co_u32 v8, vcc_lo, v2, v8
	v_add_co_ci_u32_e32 v10, vcc_lo, v3, v9, vcc_lo
	v_mul_hi_u32 v12, v6, v8
	v_mad_u64_u32 v[8:9], null, v7, v8, 0
	v_mad_u64_u32 v[2:3], null, v6, v10, 0
	v_mad_u64_u32 v[10:11], null, v7, v10, 0
	v_add_co_u32 v2, vcc_lo, v12, v2
	v_add_co_ci_u32_e32 v3, vcc_lo, 0, v3, vcc_lo
	v_add_co_u32 v2, vcc_lo, v2, v8
	v_add_co_ci_u32_e32 v2, vcc_lo, v3, v9, vcc_lo
	v_add_co_ci_u32_e32 v3, vcc_lo, 0, v11, vcc_lo
	v_add_co_u32 v8, vcc_lo, v2, v10
	v_add_co_ci_u32_e32 v9, vcc_lo, 0, v3, vcc_lo
	v_mul_lo_u32 v10, s29, v8
	v_mad_u64_u32 v[2:3], null, s28, v8, 0
	v_mul_lo_u32 v11, s28, v9
	v_sub_co_u32 v2, vcc_lo, v6, v2
	v_add3_u32 v3, v3, v11, v10
	v_sub_nc_u32_e32 v10, v7, v3
	v_subrev_co_ci_u32_e64 v10, s0, s29, v10, vcc_lo
	v_add_co_u32 v11, s0, v8, 2
	v_add_co_ci_u32_e64 v12, s0, 0, v9, s0
	v_sub_co_u32 v13, s0, v2, s28
	v_sub_co_ci_u32_e32 v3, vcc_lo, v7, v3, vcc_lo
	v_subrev_co_ci_u32_e64 v10, s0, 0, v10, s0
	v_cmp_le_u32_e32 vcc_lo, s28, v13
	v_cmp_eq_u32_e64 s0, s29, v3
	v_cndmask_b32_e64 v13, 0, -1, vcc_lo
	v_cmp_le_u32_e32 vcc_lo, s29, v10
	v_cndmask_b32_e64 v14, 0, -1, vcc_lo
	v_cmp_le_u32_e32 vcc_lo, s28, v2
	;; [unrolled: 2-line block ×3, first 2 shown]
	v_cndmask_b32_e64 v15, 0, -1, vcc_lo
	v_cmp_eq_u32_e32 vcc_lo, s29, v10
	v_cndmask_b32_e64 v2, v15, v2, s0
	v_cndmask_b32_e32 v10, v14, v13, vcc_lo
	v_add_co_u32 v13, vcc_lo, v8, 1
	v_add_co_ci_u32_e32 v14, vcc_lo, 0, v9, vcc_lo
	v_cmp_ne_u32_e32 vcc_lo, 0, v10
	v_cndmask_b32_e32 v3, v14, v12, vcc_lo
	v_cndmask_b32_e32 v10, v13, v11, vcc_lo
	v_cmp_ne_u32_e32 vcc_lo, 0, v2
	v_cndmask_b32_e32 v67, v9, v3, vcc_lo
	v_cndmask_b32_e32 v66, v8, v10, vcc_lo
.LBB0_4:                                ;   in Loop: Header=BB0_2 Depth=1
	s_andn2_saveexec_b32 s0, s1
	s_cbranch_execz .LBB0_6
; %bb.5:                                ;   in Loop: Header=BB0_2 Depth=1
	v_cvt_f32_u32_e32 v2, s28
	s_sub_i32 s1, 0, s28
	v_mov_b32_e32 v67, v1
	v_rcp_iflag_f32_e32 v2, v2
	v_mul_f32_e32 v2, 0x4f7ffffe, v2
	v_cvt_u32_f32_e32 v2, v2
	v_mul_lo_u32 v3, s1, v2
	v_mul_hi_u32 v3, v2, v3
	v_add_nc_u32_e32 v2, v2, v3
	v_mul_hi_u32 v2, v6, v2
	v_mul_lo_u32 v3, v2, s28
	v_add_nc_u32_e32 v8, 1, v2
	v_sub_nc_u32_e32 v3, v6, v3
	v_subrev_nc_u32_e32 v9, s28, v3
	v_cmp_le_u32_e32 vcc_lo, s28, v3
	v_cndmask_b32_e32 v3, v3, v9, vcc_lo
	v_cndmask_b32_e32 v2, v2, v8, vcc_lo
	v_cmp_le_u32_e32 vcc_lo, s28, v3
	v_add_nc_u32_e32 v8, 1, v2
	v_cndmask_b32_e32 v66, v2, v8, vcc_lo
.LBB0_6:                                ;   in Loop: Header=BB0_2 Depth=1
	s_or_b32 exec_lo, exec_lo, s0
	v_mul_lo_u32 v8, v67, s28
	v_mul_lo_u32 v9, v66, s29
	s_load_dwordx2 s[0:1], s[22:23], 0x0
	v_mad_u64_u32 v[2:3], null, v66, s28, 0
	s_load_dwordx2 s[28:29], s[6:7], 0x0
	s_add_u32 s26, s26, 1
	s_addc_u32 s27, s27, 0
	s_add_u32 s6, s6, 8
	s_addc_u32 s7, s7, 0
	s_add_u32 s22, s22, 8
	v_add3_u32 v3, v3, v9, v8
	v_sub_co_u32 v2, vcc_lo, v6, v2
	s_addc_u32 s23, s23, 0
	s_add_u32 s24, s24, 8
	v_sub_co_ci_u32_e32 v3, vcc_lo, v7, v3, vcc_lo
	s_addc_u32 s25, s25, 0
	s_waitcnt lgkmcnt(0)
	v_mul_lo_u32 v6, s0, v3
	v_mul_lo_u32 v7, s1, v2
	v_mad_u64_u32 v[4:5], null, s0, v2, v[4:5]
	v_mul_lo_u32 v3, s28, v3
	v_mul_lo_u32 v8, s29, v2
	v_mad_u64_u32 v[62:63], null, s28, v2, v[62:63]
	v_cmp_ge_u64_e64 s0, s[26:27], s[14:15]
	v_add3_u32 v5, v7, v5, v6
	v_add3_u32 v63, v8, v63, v3
	s_and_b32 vcc_lo, exec_lo, s0
	s_cbranch_vccnz .LBB0_9
; %bb.7:                                ;   in Loop: Header=BB0_2 Depth=1
	v_mov_b32_e32 v6, v66
	v_mov_b32_e32 v7, v67
	s_branch .LBB0_2
.LBB0_8:
	v_mov_b32_e32 v63, v5
	v_mov_b32_e32 v67, v7
	;; [unrolled: 1-line block ×4, first 2 shown]
.LBB0_9:
	s_load_dwordx2 s[0:1], s[4:5], 0x28
	v_mul_hi_u32 v1, 0x1681682, v0
	s_lshl_b64 s[6:7], s[14:15], 3
                                        ; implicit-def: $vgpr64
	s_add_u32 s4, s18, s6
	s_addc_u32 s5, s19, s7
	s_waitcnt lgkmcnt(0)
	v_cmp_gt_u64_e32 vcc_lo, s[0:1], v[66:67]
	v_cmp_le_u64_e64 s0, s[0:1], v[66:67]
	s_and_saveexec_b32 s1, s0
	s_xor_b32 s0, exec_lo, s1
; %bb.10:
	v_mul_u32_u24_e32 v1, 0xb6, v1
                                        ; implicit-def: $vgpr4_vgpr5
	v_sub_nc_u32_e32 v64, v0, v1
                                        ; implicit-def: $vgpr1
                                        ; implicit-def: $vgpr0
; %bb.11:
	s_or_saveexec_b32 s1, s0
                                        ; implicit-def: $vgpr44_vgpr45
                                        ; implicit-def: $vgpr40_vgpr41
                                        ; implicit-def: $vgpr48_vgpr49
                                        ; implicit-def: $vgpr52_vgpr53
                                        ; implicit-def: $vgpr56_vgpr57
                                        ; implicit-def: $vgpr60_vgpr61
                                        ; implicit-def: $vgpr36_vgpr37
                                        ; implicit-def: $vgpr32_vgpr33
                                        ; implicit-def: $vgpr28_vgpr29
                                        ; implicit-def: $vgpr2_vgpr3
	s_xor_b32 exec_lo, exec_lo, s1
	s_cbranch_execz .LBB0_13
; %bb.12:
	s_add_u32 s6, s16, s6
	s_addc_u32 s7, s17, s7
	v_mul_u32_u24_e32 v1, 0xb6, v1
	s_load_dwordx2 s[6:7], s[6:7], 0x0
	v_lshlrev_b64 v[4:5], 4, v[4:5]
	v_sub_nc_u32_e32 v64, v0, v1
	v_add_nc_u32_e32 v14, 0xb6, v64
	v_mad_u64_u32 v[0:1], null, s20, v64, 0
	v_add_nc_u32_e32 v15, 0x16c, v64
	v_add_nc_u32_e32 v16, 0x222, v64
	v_mad_u64_u32 v[2:3], null, s20, v14, 0
	v_add_nc_u32_e32 v19, 0x2d8, v64
	v_mad_u64_u32 v[6:7], null, s20, v15, 0
	v_mad_u64_u32 v[8:9], null, s20, v16, 0
	s_waitcnt lgkmcnt(0)
	v_mul_lo_u32 v17, s7, v66
	v_mul_lo_u32 v18, s6, v67
	v_mad_u64_u32 v[10:11], null, s6, v66, 0
	v_mad_u64_u32 v[12:13], null, s21, v64, v[1:2]
	v_mov_b32_e32 v1, v3
	v_mov_b32_e32 v3, v7
	;; [unrolled: 1-line block ×3, first 2 shown]
	v_add_nc_u32_e32 v20, 0x666, v64
	v_add3_u32 v11, v11, v18, v17
	v_mad_u64_u32 v[13:14], null, s21, v14, v[1:2]
	v_mov_b32_e32 v1, v12
	v_mad_u64_u32 v[14:15], null, s21, v15, v[3:4]
	v_lshlrev_b64 v[9:10], 4, v[10:11]
	v_mad_u64_u32 v[11:12], null, s21, v16, v[7:8]
	v_mov_b32_e32 v3, v13
	v_lshlrev_b64 v[0:1], 4, v[0:1]
	v_mad_u64_u32 v[12:13], null, s20, v19, 0
	v_add_co_u32 v9, s0, s8, v9
	v_add_co_ci_u32_e64 v10, s0, s9, v10, s0
	v_lshlrev_b64 v[2:3], 4, v[2:3]
	v_add_co_u32 v21, s0, v9, v4
	v_add_co_ci_u32_e64 v22, s0, v10, v5, s0
	v_mov_b32_e32 v7, v14
	v_add_co_u32 v0, s0, v21, v0
	v_add_co_ci_u32_e64 v1, s0, v22, v1, s0
	v_add_co_u32 v4, s0, v21, v2
	v_lshlrev_b64 v[6:7], 4, v[6:7]
	v_add_co_ci_u32_e64 v5, s0, v22, v3, s0
	v_mov_b32_e32 v9, v11
	s_clause 0x1
	global_load_dwordx4 v[0:3], v[0:1], off
	global_load_dwordx4 v[26:29], v[4:5], off
	v_add_co_u32 v4, s0, v21, v6
	v_add_nc_u32_e32 v11, 0x38e, v64
	v_add_co_ci_u32_e64 v5, s0, v22, v7, s0
	v_lshlrev_b64 v[7:8], 4, v[8:9]
	v_mov_b32_e32 v6, v13
	v_add_nc_u32_e32 v18, 0x444, v64
	v_mad_u64_u32 v[9:10], null, s20, v11, 0
	v_mad_u64_u32 v[13:14], null, s21, v19, v[6:7]
	;; [unrolled: 1-line block ×3, first 2 shown]
	v_add_nc_u32_e32 v19, 0x4fa, v64
	v_add_co_u32 v6, s0, v21, v7
	v_add_co_ci_u32_e64 v7, s0, v22, v8, s0
	v_mad_u64_u32 v[16:17], null, s20, v19, 0
	v_mov_b32_e32 v8, v10
	s_clause 0x1
	global_load_dwordx4 v[30:33], v[4:5], off
	global_load_dwordx4 v[34:37], v[6:7], off
	v_lshlrev_b64 v[5:6], 4, v[12:13]
	v_add_nc_u32_e32 v13, 0x5b0, v64
	v_mov_b32_e32 v4, v15
	v_mad_u64_u32 v[10:11], null, s21, v11, v[8:9]
	v_mad_u64_u32 v[11:12], null, s20, v13, 0
	;; [unrolled: 1-line block ×3, first 2 shown]
	v_mov_b32_e32 v4, v17
	v_lshlrev_b64 v[8:9], 4, v[9:10]
	v_mad_u64_u32 v[17:18], null, s21, v19, v[4:5]
	v_add_co_u32 v4, s0, v21, v5
	v_mad_u64_u32 v[18:19], null, s20, v20, 0
	v_add_co_ci_u32_e64 v5, s0, v22, v6, s0
	v_mov_b32_e32 v6, v12
	v_mov_b32_e32 v15, v7
	v_add_co_u32 v8, s0, v21, v8
	v_add_co_ci_u32_e64 v9, s0, v22, v9, s0
	v_mad_u64_u32 v[6:7], null, s21, v13, v[6:7]
	v_mov_b32_e32 v7, v19
	v_lshlrev_b64 v[13:14], 4, v[14:15]
	v_lshlrev_b64 v[15:16], 4, v[16:17]
	v_mad_u64_u32 v[19:20], null, s21, v20, v[7:8]
	v_mov_b32_e32 v12, v6
	v_add_co_u32 v6, s0, v21, v13
	v_add_co_ci_u32_e64 v7, s0, v22, v14, s0
	v_lshlrev_b64 v[10:11], 4, v[11:12]
	v_add_co_u32 v12, s0, v21, v15
	v_lshlrev_b64 v[14:15], 4, v[18:19]
	v_add_co_ci_u32_e64 v13, s0, v22, v16, s0
	v_add_co_u32 v10, s0, v21, v10
	v_add_co_ci_u32_e64 v11, s0, v22, v11, s0
	v_add_co_u32 v14, s0, v21, v14
	v_add_co_ci_u32_e64 v15, s0, v22, v15, s0
	s_clause 0x5
	global_load_dwordx4 v[58:61], v[4:5], off
	global_load_dwordx4 v[54:57], v[8:9], off
	;; [unrolled: 1-line block ×6, first 2 shown]
.LBB0_13:
	s_or_b32 exec_lo, exec_lo, s1
	s_waitcnt vmcnt(2)
	v_add_f64 v[4:5], v[48:49], v[56:57]
	s_waitcnt vmcnt(0)
	v_add_f64 v[6:7], v[44:45], v[36:37]
	v_add_f64 v[8:9], v[46:47], v[54:55]
	;; [unrolled: 1-line block ×3, first 2 shown]
	v_add_f64 v[12:13], v[34:35], -v[42:43]
	v_add_f64 v[14:15], v[54:55], -v[46:47]
	s_mov_b32 s16, 0x134454ff
	s_mov_b32 s17, 0xbfee6f0e
	;; [unrolled: 1-line block ×4, first 2 shown]
	v_add_f64 v[18:19], v[36:37], -v[56:57]
	v_add_f64 v[20:21], v[44:45], -v[48:49]
	;; [unrolled: 1-line block ×4, first 2 shown]
	v_add_f64 v[68:69], v[50:51], v[58:59]
	v_add_f64 v[70:71], v[38:39], v[30:31]
	v_add_f64 v[72:73], v[36:37], -v[44:45]
	v_add_f64 v[74:75], v[56:57], -v[48:49]
	s_mov_b32 s14, 0x4755a5e
	s_mov_b32 s15, 0xbfe2cf23
	;; [unrolled: 1-line block ×4, first 2 shown]
	v_fma_f64 v[4:5], v[4:5], -0.5, v[28:29]
	v_fma_f64 v[6:7], v[6:7], -0.5, v[28:29]
	;; [unrolled: 1-line block ×4, first 2 shown]
	v_add_f64 v[16:17], v[34:35], -v[54:55]
	v_add_f64 v[80:81], v[42:43], -v[46:47]
	;; [unrolled: 1-line block ×6, first 2 shown]
	v_add_f64 v[90:91], v[30:31], v[0:1]
	v_add_f64 v[26:27], v[34:35], v[26:27]
	;; [unrolled: 1-line block ×4, first 2 shown]
	v_fma_f64 v[34:35], v[68:69], -0.5, v[0:1]
	v_fma_f64 v[0:1], v[70:71], -0.5, v[0:1]
	s_mov_b32 s18, 0x372fe950
	s_mov_b32 s19, 0x3fd3c6ef
	;; [unrolled: 1-line block ×6, first 2 shown]
	v_fma_f64 v[76:77], v[12:13], s[6:7], v[4:5]
	v_fma_f64 v[78:79], v[14:15], s[16:17], v[6:7]
	;; [unrolled: 1-line block ×8, first 2 shown]
	v_add_f64 v[16:17], v[80:81], v[16:17]
	v_add_f64 v[80:81], v[84:85], v[82:83]
	;; [unrolled: 1-line block ×4, first 2 shown]
	s_mov_b32 s0, s18
	s_mov_b32 s22, s20
	v_fma_f64 v[54:55], v[86:87], s[16:17], v[34:35]
	v_fma_f64 v[84:85], v[86:87], s[6:7], v[34:35]
	;; [unrolled: 1-line block ×4, first 2 shown]
	s_load_dwordx2 s[4:5], s[4:5], 0x0
	v_fma_f64 v[24:25], v[14:15], s[8:9], v[76:77]
	v_fma_f64 v[70:71], v[12:13], s[8:9], v[78:79]
	;; [unrolled: 1-line block ×4, first 2 shown]
	v_add_f64 v[12:13], v[30:31], -v[58:59]
	v_add_f64 v[14:15], v[38:39], -v[50:51]
	;; [unrolled: 1-line block ×4, first 2 shown]
	v_fma_f64 v[22:23], v[74:75], s[14:15], v[22:23]
	v_fma_f64 v[8:9], v[74:75], s[8:9], v[8:9]
	;; [unrolled: 1-line block ×8, first 2 shown]
	v_add_f64 v[4:5], v[14:15], v[12:13]
	v_add_f64 v[12:13], v[50:51], v[82:83]
	;; [unrolled: 1-line block ×4, first 2 shown]
	v_fma_f64 v[18:19], v[88:89], s[14:15], v[54:55]
	v_fma_f64 v[20:21], v[88:89], s[8:9], v[84:85]
	;; [unrolled: 1-line block ×7, first 2 shown]
	v_mul_f64 v[8:9], v[0:1], s[14:15]
	v_fma_f64 v[76:77], v[80:81], s[18:19], v[24:25]
	v_mul_f64 v[16:17], v[34:35], s[16:17]
	v_mul_f64 v[10:11], v[70:71], s[16:17]
	;; [unrolled: 1-line block ×3, first 2 shown]
	v_add_f64 v[12:13], v[38:39], v[12:13]
	v_add_f64 v[14:15], v[42:43], v[14:15]
	v_fma_f64 v[24:25], v[4:5], s[18:19], v[18:19]
	v_fma_f64 v[42:43], v[4:5], s[18:19], v[20:21]
	;; [unrolled: 1-line block ×8, first 2 shown]
	v_cmp_gt_u32_e64 s0, 0x8c, v64
	v_add_f64 v[4:5], v[14:15], v[12:13]
	v_add_f64 v[18:19], v[12:13], -v[14:15]
	v_add_f64 v[6:7], v[24:25], v[8:9]
	v_add_f64 v[8:9], v[24:25], -v[8:9]
	v_add_f64 v[10:11], v[20:21], -v[16:17]
	v_add_f64 v[20:21], v[20:21], v[16:17]
	v_add_f64 v[22:23], v[26:27], v[54:55]
	;; [unrolled: 1-line block ×3, first 2 shown]
	v_add_f64 v[12:13], v[26:27], -v[54:55]
	v_add_f64 v[14:15], v[42:43], -v[78:79]
	v_mul_u32_u24_e32 v24, 10, v64
                                        ; implicit-def: $vgpr54_vgpr55
                                        ; implicit-def: $vgpr26_vgpr27
	v_lshl_add_u32 v78, v24, 3, 0
	ds_write_b128 v78, v[4:7]
	ds_write_b128 v78, v[20:23] offset:16
	ds_write_b128 v78, v[16:19] offset:32
	;; [unrolled: 1-line block ×4, first 2 shown]
	v_mad_i32_i24 v65, 0xffffffb8, v64, v78
	s_waitcnt lgkmcnt(0)
	s_barrier
	buffer_gl0_inv
	s_and_saveexec_b32 s1, s0
	s_cbranch_execz .LBB0_15
; %bb.14:
	v_add_nc_u32_e32 v8, 0x800, v65
	v_add_nc_u32_e32 v9, 0x1000, v65
	;; [unrolled: 1-line block ×5, first 2 shown]
	ds_read2_b64 v[4:7], v65 offset1:140
	ds_read2_b64 v[20:23], v8 offset0:24 offset1:164
	ds_read2_b64 v[16:19], v9 offset0:48 offset1:188
	;; [unrolled: 1-line block ×5, first 2 shown]
	ds_read_b64 v[54:55], v65 offset:13440
.LBB0_15:
	s_or_b32 exec_lo, exec_lo, s1
	v_add_f64 v[42:43], v[52:53], v[60:61]
	v_add_f64 v[79:80], v[40:41], v[32:33]
	v_add_f64 v[81:82], v[32:33], v[2:3]
	v_add_f64 v[30:31], v[30:31], -v[38:39]
	v_add_f64 v[28:29], v[36:37], v[28:29]
	v_add_f64 v[36:37], v[58:59], -v[50:51]
	v_add_f64 v[50:51], v[40:41], -v[52:53]
	v_mul_f64 v[72:73], v[72:73], s[8:9]
	v_mul_f64 v[76:77], v[76:77], s[6:7]
	;; [unrolled: 1-line block ×4, first 2 shown]
	s_waitcnt lgkmcnt(0)
	s_barrier
	buffer_gl0_inv
	v_fma_f64 v[38:39], v[42:43], -0.5, v[2:3]
	v_fma_f64 v[2:3], v[79:80], -0.5, v[2:3]
	v_add_f64 v[42:43], v[32:33], -v[60:61]
	v_add_f64 v[32:33], v[60:61], -v[32:33]
	v_add_f64 v[58:59], v[60:61], v[81:82]
	v_add_f64 v[28:29], v[56:57], v[28:29]
	v_add_f64 v[56:57], v[52:53], -v[40:41]
	v_fma_f64 v[34:35], v[34:35], s[18:19], v[76:77]
	v_fma_f64 v[60:61], v[30:31], s[6:7], v[38:39]
	;; [unrolled: 1-line block ×5, first 2 shown]
	v_add_f64 v[42:43], v[50:51], v[42:43]
	v_add_f64 v[50:51], v[52:53], v[58:59]
	;; [unrolled: 1-line block ×4, first 2 shown]
	v_fma_f64 v[56:57], v[0:1], s[20:21], v[72:73]
	v_fma_f64 v[58:59], v[74:75], s[6:7], -v[70:71]
	v_fma_f64 v[48:49], v[36:37], s[8:9], v[60:61]
	v_fma_f64 v[52:53], v[30:31], s[8:9], v[79:80]
	;; [unrolled: 1-line block ×4, first 2 shown]
	v_add_f64 v[36:37], v[40:41], v[50:51]
	v_add_f64 v[28:29], v[44:45], v[28:29]
	v_fma_f64 v[44:45], v[46:47], s[8:9], -v[68:69]
	v_fma_f64 v[46:47], v[42:43], s[18:19], v[48:49]
	v_fma_f64 v[48:49], v[32:33], s[18:19], v[52:53]
	;; [unrolled: 1-line block ×4, first 2 shown]
	v_add_f64 v[0:1], v[28:29], v[36:37]
	v_add_f64 v[38:39], v[36:37], -v[28:29]
	v_add_f64 v[2:3], v[46:47], v[56:57]
	v_add_f64 v[40:41], v[48:49], v[34:35]
	;; [unrolled: 1-line block ×4, first 2 shown]
	v_add_f64 v[28:29], v[46:47], -v[56:57]
	v_add_f64 v[30:31], v[48:49], -v[34:35]
	;; [unrolled: 1-line block ×4, first 2 shown]
                                        ; implicit-def: $vgpr48_vgpr49
                                        ; implicit-def: $vgpr46_vgpr47
	ds_write_b128 v78, v[0:3]
	ds_write_b128 v78, v[40:43] offset:16
	ds_write_b128 v78, v[36:39] offset:32
	ds_write_b128 v78, v[28:31] offset:48
	ds_write_b128 v78, v[32:35] offset:64
	s_waitcnt lgkmcnt(0)
	s_barrier
	buffer_gl0_inv
	s_and_saveexec_b32 s1, s0
	s_cbranch_execz .LBB0_17
; %bb.16:
	v_add_nc_u32_e32 v28, 0x800, v65
	v_add_nc_u32_e32 v29, 0x1000, v65
	v_add_nc_u32_e32 v30, 0x1800, v65
	v_add_nc_u32_e32 v32, 0x2000, v65
	v_add_nc_u32_e32 v44, 0x2a00, v65
	ds_read2_b64 v[0:3], v65 offset1:140
	ds_read2_b64 v[40:43], v28 offset0:24 offset1:164
	ds_read2_b64 v[36:39], v29 offset0:48 offset1:188
	ds_read2_b64 v[28:31], v30 offset0:72 offset1:212
	ds_read2_b64 v[32:35], v32 offset0:96 offset1:236
	ds_read2_b64 v[44:47], v44 offset0:56 offset1:196
	ds_read_b64 v[48:49], v65 offset:13440
.LBB0_17:
	s_or_b32 exec_lo, exec_lo, s1
	v_and_b32_e32 v50, 0xff, v64
	v_mov_b32_e32 v51, 12
	s_mov_b32 s28, 0x42a4c3d2
	s_mov_b32 s36, 0x66966769
	;; [unrolled: 1-line block ×3, first 2 shown]
	v_mul_lo_u16 v50, 0xcd, v50
	s_mov_b32 s26, 0x4bc48dbf
	s_mov_b32 s30, 0x24c2f84
	;; [unrolled: 1-line block ×4, first 2 shown]
	v_lshrrev_b16 v65, 11, v50
	s_mov_b32 s29, 0xbfea55e2
	s_mov_b32 s37, 0xbfefc445
	;; [unrolled: 1-line block ×4, first 2 shown]
	v_mul_lo_u16 v50, v65, 10
	s_mov_b32 s31, 0xbfe5384d
	s_mov_b32 s6, 0xe00740e9
	;; [unrolled: 1-line block ×4, first 2 shown]
	v_sub_nc_u16 v157, v64, v50
	s_mov_b32 s16, 0xb2365da1
	s_mov_b32 s18, 0x93053d00
	;; [unrolled: 1-line block ×4, first 2 shown]
	v_mul_u32_u24_sdwa v50, v157, v51 dst_sel:DWORD dst_unused:UNUSED_PAD src0_sel:BYTE_0 src1_sel:DWORD
	s_mov_b32 s15, 0x3fe22d96
	s_mov_b32 s9, 0x3fbedb7d
	;; [unrolled: 1-line block ×4, first 2 shown]
	v_lshlrev_b32_e32 v50, 4, v50
	s_mov_b32 s39, 0x3fe5384d
	s_mov_b32 s21, 0xbfe7f3cc
	;; [unrolled: 1-line block ×4, first 2 shown]
	s_clause 0xb
	global_load_dwordx4 v[56:59], v50, s[12:13] offset:176
	global_load_dwordx4 v[68:71], v50, s[12:13]
	global_load_dwordx4 v[72:75], v50, s[12:13] offset:16
	global_load_dwordx4 v[76:79], v50, s[12:13] offset:160
	;; [unrolled: 1-line block ×10, first 2 shown]
	s_mov_b32 s34, s36
	s_mov_b32 s45, 0x3fedeba7
	s_mov_b32 s44, s24
	s_mov_b32 s43, 0x3fcea1e5
	s_mov_b32 s41, 0x3fea55e2
	s_mov_b32 s42, s26
	s_mov_b32 s40, s28
	s_waitcnt vmcnt(0) lgkmcnt(0)
	s_barrier
	buffer_gl0_inv
	v_mul_f64 v[50:51], v[54:55], v[58:59]
	v_mul_f64 v[52:53], v[6:7], v[70:71]
	;; [unrolled: 1-line block ×15, first 2 shown]
	v_fma_f64 v[48:49], v[48:49], v[56:57], -v[50:51]
	v_fma_f64 v[50:51], v[2:3], v[68:69], -v[52:53]
	v_mul_f64 v[2:3], v[22:23], v[86:87]
	v_fma_f64 v[52:53], v[40:41], v[72:73], -v[60:61]
	v_fma_f64 v[40:41], v[46:47], v[76:77], -v[80:81]
	v_fma_f64 v[80:81], v[54:55], v[56:57], v[58:59]
	v_fma_f64 v[82:83], v[6:7], v[68:69], v[70:71]
	v_mul_f64 v[60:61], v[42:43], v[86:87]
	v_mul_f64 v[56:57], v[36:37], v[98:99]
	;; [unrolled: 1-line block ×6, first 2 shown]
	v_fma_f64 v[74:75], v[20:21], v[72:73], v[74:75]
	v_fma_f64 v[76:77], v[26:27], v[76:77], v[78:79]
	;; [unrolled: 1-line block ×3, first 2 shown]
	v_add_f64 v[6:7], v[50:51], -v[48:49]
	v_fma_f64 v[46:47], v[42:43], v[84:85], -v[2:3]
	v_fma_f64 v[42:43], v[44:45], v[90:91], -v[88:89]
	v_mul_f64 v[2:3], v[8:9], v[128:129]
	v_add_f64 v[26:27], v[52:53], -v[40:41]
	v_add_f64 v[108:109], v[82:83], v[80:81]
	v_fma_f64 v[72:73], v[22:23], v[84:85], v[60:61]
	v_fma_f64 v[68:69], v[16:17], v[96:97], v[56:57]
	v_fma_f64 v[36:37], v[36:37], v[96:97], -v[58:59]
	v_mul_f64 v[128:129], v[30:31], v[132:133]
	v_fma_f64 v[24:25], v[18:19], v[100:101], v[70:71]
	v_fma_f64 v[16:17], v[34:35], v[104:105], -v[98:99]
	v_fma_f64 v[34:35], v[38:39], v[100:101], -v[86:87]
	v_add_f64 v[120:121], v[74:75], v[76:77]
	v_fma_f64 v[18:19], v[32:33], v[112:113], -v[114:115]
	v_fma_f64 v[70:71], v[14:15], v[104:105], v[122:123]
	v_mul_f64 v[20:21], v[6:7], s[22:23]
	v_mul_f64 v[44:45], v[6:7], s[28:29]
	v_mul_f64 v[88:89], v[6:7], s[36:37]
	v_mul_f64 v[54:55], v[6:7], s[24:25]
	v_mul_f64 v[94:95], v[6:7], s[30:31]
	v_mul_f64 v[102:103], v[6:7], s[26:27]
	s_mov_b32 s23, 0x3fddbe06
	v_add_f64 v[6:7], v[46:47], -v[42:43]
	v_fma_f64 v[22:23], v[28:29], v[126:127], -v[2:3]
	v_mul_f64 v[38:39], v[26:27], s[28:29]
	v_mul_f64 v[84:85], v[26:27], s[24:25]
	;; [unrolled: 1-line block ×6, first 2 shown]
	v_add_f64 v[122:123], v[72:73], v[78:79]
	v_add_f64 v[14:15], v[36:37], -v[16:17]
	v_fma_f64 v[2:3], v[108:109], s[6:7], -v[20:21]
	v_fma_f64 v[26:27], v[108:109], s[14:15], -v[44:45]
	;; [unrolled: 1-line block ×6, first 2 shown]
	v_mul_f64 v[28:29], v[6:7], s[36:37]
	v_mul_f64 v[32:33], v[6:7], s[26:27]
	;; [unrolled: 1-line block ×6, first 2 shown]
	v_fma_f64 v[6:7], v[120:121], s[14:15], -v[38:39]
	v_fma_f64 v[132:133], v[120:121], s[16:17], -v[84:85]
	;; [unrolled: 1-line block ×6, first 2 shown]
	v_mul_f64 v[104:105], v[14:15], s[38:39]
	v_mul_f64 v[114:115], v[14:15], s[22:23]
	v_add_f64 v[2:3], v[4:5], v[2:3]
	v_add_f64 v[144:145], v[4:5], v[26:27]
	;; [unrolled: 1-line block ×6, first 2 shown]
	v_fma_f64 v[26:27], v[30:31], v[130:131], -v[116:117]
	v_fma_f64 v[60:61], v[12:13], v[112:113], v[118:119]
	v_add_f64 v[124:125], v[68:69], v[70:71]
	v_add_f64 v[12:13], v[34:35], -v[18:19]
	v_mul_f64 v[30:31], v[14:15], s[24:25]
	v_mul_f64 v[112:113], v[14:15], s[36:37]
	;; [unrolled: 1-line block ×4, first 2 shown]
	v_fma_f64 v[14:15], v[122:123], s[8:9], -v[28:29]
	v_fma_f64 v[150:151], v[122:123], s[18:19], -v[32:33]
	;; [unrolled: 1-line block ×6, first 2 shown]
	v_add_f64 v[2:3], v[6:7], v[2:3]
	v_add_f64 v[6:7], v[132:133], v[144:145]
	;; [unrolled: 1-line block ×6, first 2 shown]
	v_fma_f64 v[56:57], v[8:9], v[126:127], v[134:135]
	v_fma_f64 v[58:59], v[10:11], v[130:131], v[128:129]
	v_add_f64 v[132:133], v[24:25], v[60:61]
	v_add_f64 v[8:9], v[22:23], -v[26:27]
	v_mul_f64 v[126:127], v[12:13], s[30:31]
	v_mul_f64 v[128:129], v[12:13], s[34:35]
	;; [unrolled: 1-line block ×6, first 2 shown]
	v_fma_f64 v[10:11], v[124:125], s[16:17], -v[30:31]
	v_fma_f64 v[12:13], v[124:125], s[20:21], -v[104:105]
	;; [unrolled: 1-line block ×6, first 2 shown]
	v_add_f64 v[2:3], v[14:15], v[2:3]
	v_add_f64 v[6:7], v[150:151], v[6:7]
	;; [unrolled: 1-line block ×7, first 2 shown]
	v_mul_f64 v[136:137], v[8:9], s[26:27]
	v_mul_f64 v[142:143], v[8:9], s[30:31]
	;; [unrolled: 1-line block ×6, first 2 shown]
	v_fma_f64 v[8:9], v[132:133], s[20:21], -v[126:127]
	v_fma_f64 v[170:171], v[132:133], s[8:9], -v[128:129]
	v_fma_f64 v[172:173], v[132:133], s[14:15], -v[130:131]
	v_fma_f64 v[174:175], v[132:133], s[18:19], -v[134:135]
	v_fma_f64 v[176:177], v[132:133], s[16:17], -v[140:141]
	v_fma_f64 v[178:179], v[132:133], s[6:7], -v[138:139]
	v_add_f64 v[2:3], v[10:11], v[2:3]
	v_add_f64 v[6:7], v[12:13], v[6:7]
	;; [unrolled: 1-line block ×6, first 2 shown]
	v_fma_f64 v[158:159], v[150:151], s[18:19], -v[136:137]
	v_fma_f64 v[160:161], v[150:151], s[20:21], -v[142:143]
	;; [unrolled: 1-line block ×6, first 2 shown]
	v_add_f64 v[2:3], v[8:9], v[2:3]
	v_add_f64 v[8:9], v[170:171], v[6:7]
	;; [unrolled: 1-line block ×12, first 2 shown]
	s_and_saveexec_b32 s1, s0
	s_cbranch_execz .LBB0_19
; %bb.18:
	v_add_f64 v[154:155], v[4:5], v[82:83]
	v_mul_f64 v[162:163], v[108:109], s[8:9]
	v_mul_f64 v[164:165], v[108:109], s[14:15]
	v_mul_f64 v[160:161], v[108:109], s[20:21]
	v_mul_f64 v[166:167], v[108:109], s[16:17]
	v_mul_f64 v[158:159], v[108:109], s[18:19]
	v_mul_f64 v[108:109], v[108:109], s[6:7]
	v_mul_f64 v[174:175], v[120:121], s[18:19]
	v_mul_f64 v[176:177], v[120:121], s[16:17]
	v_mul_f64 v[170:171], v[120:121], s[8:9]
	v_mul_f64 v[172:173], v[120:121], s[20:21]
	v_mul_f64 v[168:169], v[120:121], s[6:7]
	v_mul_f64 v[120:121], v[120:121], s[14:15]
	v_add_f64 v[154:155], v[154:155], v[74:75]
	v_add_f64 v[88:89], v[162:163], v[88:89]
	;; [unrolled: 1-line block ×7, first 2 shown]
	v_mul_f64 v[158:159], v[122:123], s[18:19]
	v_mul_f64 v[160:161], v[122:123], s[16:17]
	v_add_f64 v[90:91], v[174:175], v[90:91]
	v_add_f64 v[84:85], v[176:177], v[84:85]
	v_mul_f64 v[162:163], v[122:123], s[6:7]
	v_mul_f64 v[164:165], v[122:123], s[14:15]
	v_add_f64 v[106:107], v[170:171], v[106:107]
	v_add_f64 v[96:97], v[172:173], v[96:97]
	;; [unrolled: 1-line block ×4, first 2 shown]
	v_mul_f64 v[120:121], v[124:125], s[20:21]
	v_mul_f64 v[166:167], v[124:125], s[6:7]
	;; [unrolled: 1-line block ×4, first 2 shown]
	v_add_f64 v[154:155], v[154:155], v[72:73]
	v_add_f64 v[88:89], v[4:5], v[88:89]
	v_add_f64 v[44:45], v[4:5], v[44:45]
	v_add_f64 v[94:95], v[4:5], v[94:95]
	v_add_f64 v[54:55], v[4:5], v[54:55]
	v_add_f64 v[102:103], v[4:5], v[102:103]
	v_add_f64 v[4:5], v[4:5], v[20:21]
	v_add_f64 v[32:33], v[158:159], v[32:33]
	v_add_f64 v[86:87], v[160:161], v[86:87]
	v_add_f64 v[98:99], v[162:163], v[98:99]
	v_add_f64 v[92:93], v[164:165], v[92:93]
	v_add_f64 v[104:105], v[120:121], v[104:105]
	v_add_f64 v[114:115], v[166:167], v[114:115]
	v_add_f64 v[112:113], v[168:169], v[112:113]
	v_add_f64 v[116:117], v[170:171], v[116:117]
	v_add_f64 v[154:155], v[154:155], v[68:69]
	v_add_f64 v[88:89], v[90:91], v[88:89]
	v_add_f64 v[44:45], v[84:85], v[44:45]
	v_add_f64 v[94:95], v[106:107], v[94:95]
	v_add_f64 v[54:55], v[96:97], v[54:55]
	v_add_f64 v[102:103], v[110:111], v[102:103]
	v_add_f64 v[4:5], v[38:39], v[4:5]
	v_mul_f64 v[84:85], v[132:133], s[8:9]
	v_mul_f64 v[90:91], v[132:133], s[14:15]
	;; [unrolled: 1-line block ×6, first 2 shown]
	v_add_f64 v[154:155], v[154:155], v[24:25]
	v_add_f64 v[86:87], v[86:87], v[88:89]
	;; [unrolled: 1-line block ×5, first 2 shown]
	v_mul_f64 v[54:55], v[150:151], s[6:7]
	v_mul_f64 v[88:89], v[150:151], s[20:21]
	v_add_f64 v[84:85], v[84:85], v[128:129]
	v_add_f64 v[90:91], v[90:91], v[130:131]
	v_mul_f64 v[94:95], v[150:151], s[14:15]
	v_mul_f64 v[98:99], v[150:151], s[16:17]
	v_add_f64 v[106:107], v[106:107], v[138:139]
	v_add_f64 v[96:97], v[96:97], v[134:135]
	;; [unrolled: 1-line block ×4, first 2 shown]
	v_mul_f64 v[154:155], v[122:123], s[8:9]
	v_mul_f64 v[122:123], v[122:123], s[20:21]
	v_add_f64 v[86:87], v[114:115], v[86:87]
	v_add_f64 v[32:33], v[104:105], v[32:33]
	v_add_f64 v[92:93], v[116:117], v[92:93]
	v_add_f64 v[44:45], v[112:113], v[44:45]
	v_add_f64 v[88:89], v[88:89], v[142:143]
	v_add_f64 v[54:55], v[54:55], v[148:149]
	v_add_f64 v[94:95], v[94:95], v[144:145]
	v_add_f64 v[98:99], v[98:99], v[146:147]
	v_add_f64 v[20:21], v[108:109], v[58:59]
	v_mul_f64 v[108:109], v[124:125], s[16:17]
	v_mul_f64 v[124:125], v[124:125], s[14:15]
	v_add_f64 v[100:101], v[122:123], v[100:101]
	v_add_f64 v[28:29], v[154:155], v[28:29]
	;; [unrolled: 1-line block ×11, first 2 shown]
	v_mul_f64 v[102:103], v[150:151], s[8:9]
	v_add_f64 v[108:109], v[110:111], v[140:141]
	v_mul_f64 v[28:29], v[150:151], s[18:19]
	v_add_f64 v[84:85], v[88:89], v[86:87]
	v_add_f64 v[32:33], v[54:55], v[32:33]
	;; [unrolled: 1-line block ×15, first 2 shown]
	v_mov_b32_e32 v28, 0x410
	v_mov_b32_e32 v29, 3
	v_mul_u32_u24_sdwa v28, v65, v28 dst_sel:DWORD dst_unused:UNUSED_PAD src0_sel:WORD_0 src1_sel:DWORD
	v_lshlrev_b32_sdwa v29, v29, v157 dst_sel:DWORD dst_unused:UNUSED_PAD src0_sel:DWORD src1_sel:BYTE_0
	v_add3_u32 v28, 0, v28, v29
	v_add_f64 v[20:21], v[20:21], v[80:81]
	ds_write2_b64 v28, v[14:15], v[12:13] offset0:80 offset1:90
	ds_write2_b64 v28, v[10:11], v[8:9] offset0:100 offset1:110
	;; [unrolled: 1-line block ×5, first 2 shown]
	ds_write2_b64 v28, v[20:21], v[4:5] offset1:10
	ds_write_b64 v28, v[6:7] offset:960
.LBB0_19:
	s_or_b32 exec_lo, exec_lo, s1
	v_lshl_add_u32 v156, v64, 3, 0
	s_waitcnt lgkmcnt(0)
	s_barrier
	buffer_gl0_inv
	v_cmp_gt_u32_e64 s1, 0x4e, v64
	ds_read_b64 v[20:21], v156
	ds_read_b64 v[32:33], v156 offset:2080
	ds_read_b64 v[38:39], v156 offset:4160
	;; [unrolled: 1-line block ×6, first 2 shown]
                                        ; implicit-def: $vgpr4_vgpr5
	s_and_saveexec_b32 s6, s1
	s_cbranch_execz .LBB0_21
; %bb.20:
	ds_read_b64 v[2:3], v156 offset:1456
	ds_read_b64 v[14:15], v156 offset:3536
	;; [unrolled: 1-line block ×7, first 2 shown]
.LBB0_21:
	s_or_b32 exec_lo, exec_lo, s6
	v_add_f64 v[92:93], v[50:51], v[48:49]
	s_mov_b32 s28, 0xe00740e9
	s_mov_b32 s30, 0x1ea71119
	;; [unrolled: 1-line block ×12, first 2 shown]
	v_add_f64 v[80:81], v[82:83], -v[80:81]
	v_add_f64 v[100:101], v[52:53], v[40:41]
	s_mov_b32 s18, 0x4267c47c
	s_mov_b32 s6, 0x42a4c3d2
	s_mov_b32 s8, 0x66966769
	s_mov_b32 s14, 0x2ef20147
	s_mov_b32 s16, 0x24c2f84
	s_mov_b32 s22, 0x4bc48dbf
	s_mov_b32 s19, 0xbfddbe06
	v_mul_f64 v[90:91], v[92:93], s[28:29]
	v_mul_f64 v[88:89], v[92:93], s[30:31]
	;; [unrolled: 1-line block ×6, first 2 shown]
	s_mov_b32 s7, 0xbfea55e2
	s_mov_b32 s9, 0xbfefc445
	;; [unrolled: 1-line block ×5, first 2 shown]
	v_add_f64 v[114:115], v[46:47], v[42:43]
	v_add_f64 v[108:109], v[74:75], -v[76:77]
	s_mov_b32 s27, 0x3fe5384d
	v_mul_f64 v[96:97], v[100:101], s[30:31]
	v_mul_f64 v[94:95], v[100:101], s[42:43]
	;; [unrolled: 1-line block ×6, first 2 shown]
	s_mov_b32 s21, 0x3fefc445
	s_mov_b32 s25, 0x3fddbe06
	v_fma_f64 v[112:113], v[80:81], s[18:19], v[90:91]
	v_fma_f64 v[116:117], v[80:81], s[6:7], v[88:89]
	;; [unrolled: 1-line block ×6, first 2 shown]
	s_mov_b32 s26, s16
	s_mov_b32 s20, s8
	;; [unrolled: 1-line block ×3, first 2 shown]
	v_add_f64 v[106:107], v[72:73], -v[78:79]
	v_add_f64 v[126:127], v[36:37], v[16:17]
	v_mul_f64 v[102:103], v[114:115], s[34:35]
	v_mul_f64 v[104:105], v[114:115], s[46:47]
	v_mul_f64 v[100:101], v[114:115], s[42:43]
	v_mul_f64 v[78:79], v[114:115], s[28:29]
	v_mul_f64 v[72:73], v[114:115], s[30:31]
	v_fma_f64 v[130:131], v[108:109], s[6:7], v[96:97]
	v_fma_f64 v[132:133], v[108:109], s[14:15], v[94:95]
	;; [unrolled: 1-line block ×5, first 2 shown]
	v_mul_f64 v[128:129], v[114:115], s[44:45]
	v_add_f64 v[140:141], v[0:1], v[112:113]
	v_add_f64 v[142:143], v[0:1], v[116:117]
	;; [unrolled: 1-line block ×5, first 2 shown]
	v_add_f64 v[112:113], v[68:69], -v[70:71]
	v_fma_f64 v[70:71], v[108:109], s[24:25], v[110:111]
	v_add_f64 v[148:149], v[0:1], v[124:125]
	s_mov_b32 s39, 0x3fedeba7
	s_mov_b32 s38, s14
	v_add_f64 v[68:69], v[34:35], v[18:19]
	v_mul_f64 v[120:121], v[126:127], s[42:43]
	v_mul_f64 v[118:119], v[126:127], s[44:45]
	;; [unrolled: 1-line block ×4, first 2 shown]
	v_fma_f64 v[150:151], v[106:107], s[8:9], v[102:103]
	v_fma_f64 v[152:153], v[106:107], s[22:23], v[104:105]
	v_fma_f64 v[154:155], v[106:107], s[38:39], v[100:101]
	v_fma_f64 v[158:159], v[106:107], s[24:25], v[78:79]
	v_fma_f64 v[160:161], v[106:107], s[6:7], v[72:73]
	v_mul_f64 v[124:125], v[126:127], s[46:47]
	s_mov_b32 s37, 0x3fcea1e5
	v_add_f64 v[140:141], v[130:131], v[140:141]
	v_add_f64 v[142:143], v[132:133], v[142:143]
	;; [unrolled: 1-line block ×5, first 2 shown]
	v_add_f64 v[138:139], v[24:25], -v[60:61]
	v_mul_f64 v[122:123], v[126:127], s[30:31]
	v_fma_f64 v[24:25], v[106:107], s[16:17], v[128:129]
	v_add_f64 v[60:61], v[70:71], v[148:149]
	s_mov_b32 s36, s22
	s_mov_b32 s40, s6
	v_add_f64 v[70:71], v[22:23], v[26:27]
	v_mul_f64 v[134:135], v[68:69], s[44:45]
	v_mul_f64 v[132:133], v[68:69], s[34:35]
	v_mul_f64 v[130:131], v[68:69], s[30:31]
	v_mul_f64 v[126:127], v[68:69], s[46:47]
	v_fma_f64 v[162:163], v[112:113], s[14:15], v[120:121]
	v_fma_f64 v[164:165], v[112:113], s[26:27], v[118:119]
	;; [unrolled: 1-line block ×4, first 2 shown]
	s_waitcnt lgkmcnt(0)
	s_barrier
	v_add_f64 v[170:171], v[150:151], v[140:141]
	v_add_f64 v[172:173], v[152:153], v[142:143]
	;; [unrolled: 1-line block ×5, first 2 shown]
	v_mul_f64 v[144:145], v[68:69], s[28:29]
	v_mul_f64 v[140:141], v[68:69], s[42:43]
	v_fma_f64 v[68:69], v[112:113], s[36:37], v[124:125]
	v_fma_f64 v[176:177], v[112:113], s[40:41], v[122:123]
	v_add_f64 v[24:25], v[24:25], v[60:61]
	v_add_f64 v[154:155], v[56:57], -v[58:59]
	v_mul_f64 v[136:137], v[70:71], s[46:47]
	v_mul_f64 v[142:143], v[70:71], s[28:29]
	;; [unrolled: 1-line block ×6, first 2 shown]
	v_fma_f64 v[56:57], v[138:139], s[16:17], v[134:135]
	v_fma_f64 v[58:59], v[138:139], s[20:21], v[132:133]
	;; [unrolled: 1-line block ×4, first 2 shown]
	buffer_gl0_inv
	v_add_f64 v[162:163], v[162:163], v[170:171]
	v_add_f64 v[164:165], v[164:165], v[172:173]
	;; [unrolled: 1-line block ×4, first 2 shown]
	v_fma_f64 v[178:179], v[138:139], s[24:25], v[144:145]
	v_fma_f64 v[180:181], v[138:139], s[14:15], v[140:141]
	v_add_f64 v[68:69], v[68:69], v[160:161]
	v_add_f64 v[24:25], v[176:177], v[24:25]
	v_fma_f64 v[160:161], v[154:155], s[22:23], v[136:137]
	v_fma_f64 v[168:169], v[154:155], s[24:25], v[142:143]
	;; [unrolled: 1-line block ×6, first 2 shown]
	v_add_f64 v[56:57], v[56:57], v[162:163]
	v_add_f64 v[58:59], v[58:59], v[164:165]
	;; [unrolled: 1-line block ×12, first 2 shown]
	s_and_saveexec_b32 s28, s0
	s_cbranch_execz .LBB0_23
; %bb.22:
	v_add_f64 v[50:51], v[0:1], v[50:51]
	v_mul_f64 v[158:159], v[80:81], s[14:15]
	v_mul_f64 v[160:161], v[80:81], s[16:17]
	;; [unrolled: 1-line block ×6, first 2 shown]
	v_add_f64 v[50:51], v[50:51], v[52:53]
	v_mul_f64 v[52:53], v[80:81], s[8:9]
	v_add_f64 v[84:85], v[84:85], -v[158:159]
	v_add_f64 v[82:83], v[82:83], -v[160:161]
	;; [unrolled: 1-line block ×6, first 2 shown]
	v_mul_f64 v[158:159], v[112:113], s[36:37]
	v_add_f64 v[46:47], v[50:51], v[46:47]
	v_mul_f64 v[50:51], v[80:81], s[6:7]
	v_add_f64 v[52:53], v[86:87], -v[52:53]
	v_mul_f64 v[86:87], v[106:107], s[22:23]
	v_add_f64 v[84:85], v[0:1], v[84:85]
	v_add_f64 v[82:83], v[0:1], v[82:83]
	;; [unrolled: 1-line block ×3, first 2 shown]
	v_mul_f64 v[46:47], v[80:81], s[18:19]
	v_mul_f64 v[80:81], v[80:81], s[22:23]
	v_add_f64 v[50:51], v[88:89], -v[50:51]
	v_mul_f64 v[88:89], v[106:107], s[38:39]
	v_add_f64 v[52:53], v[0:1], v[52:53]
	v_add_f64 v[86:87], v[104:105], -v[86:87]
	v_add_f64 v[74:75], v[74:75], v[82:83]
	v_mul_f64 v[82:83], v[138:139], s[6:7]
	v_add_f64 v[34:35], v[36:37], v[34:35]
	v_mul_f64 v[36:37], v[108:109], s[6:7]
	v_add_f64 v[46:47], v[90:91], -v[46:47]
	v_mul_f64 v[108:109], v[108:109], s[24:25]
	v_add_f64 v[80:81], v[98:99], -v[80:81]
	v_add_f64 v[50:51], v[0:1], v[50:51]
	v_mul_f64 v[90:91], v[106:107], s[24:25]
	v_mul_f64 v[98:99], v[106:107], s[6:7]
	v_add_f64 v[88:89], v[100:101], -v[88:89]
	v_add_f64 v[100:101], v[124:125], -v[158:159]
	;; [unrolled: 1-line block ×3, first 2 shown]
	v_add_f64 v[22:23], v[34:35], v[22:23]
	v_mul_f64 v[34:35], v[106:107], s[8:9]
	v_add_f64 v[36:37], v[96:97], -v[36:37]
	v_add_f64 v[46:47], v[0:1], v[46:47]
	v_mul_f64 v[106:107], v[106:107], s[16:17]
	v_add_f64 v[96:97], v[110:111], -v[108:109]
	v_add_f64 v[0:1], v[0:1], v[80:81]
	v_mul_f64 v[80:81], v[112:113], s[26:27]
	v_mul_f64 v[108:109], v[112:113], s[24:25]
	;; [unrolled: 1-line block ×3, first 2 shown]
	v_add_f64 v[78:79], v[78:79], -v[90:91]
	v_add_f64 v[72:73], v[72:73], -v[98:99]
	v_add_f64 v[22:23], v[22:23], v[26:27]
	v_mul_f64 v[26:27], v[112:113], s[14:15]
	v_add_f64 v[34:35], v[102:103], -v[34:35]
	v_add_f64 v[36:37], v[36:37], v[46:47]
	v_add_f64 v[46:47], v[94:95], v[50:51]
	;; [unrolled: 1-line block ×4, first 2 shown]
	v_mul_f64 v[112:113], v[112:113], s[40:41]
	v_add_f64 v[90:91], v[128:129], -v[106:107]
	v_add_f64 v[0:1], v[96:97], v[0:1]
	v_mul_f64 v[76:77], v[138:139], s[20:21]
	v_add_f64 v[80:81], v[118:119], -v[80:81]
	v_add_f64 v[96:97], v[116:117], -v[108:109]
	v_mul_f64 v[84:85], v[138:139], s[36:37]
	v_mul_f64 v[92:93], v[138:139], s[24:25]
	v_add_f64 v[98:99], v[114:115], -v[110:111]
	v_mul_f64 v[94:95], v[138:139], s[14:15]
	v_add_f64 v[18:19], v[22:23], v[18:19]
	v_mul_f64 v[22:23], v[138:139], s[16:17]
	v_add_f64 v[26:27], v[120:121], -v[26:27]
	v_add_f64 v[34:35], v[34:35], v[36:37]
	v_add_f64 v[36:37], v[86:87], v[46:47]
	;; [unrolled: 1-line block ×5, first 2 shown]
	v_add_f64 v[102:103], v[122:123], -v[112:113]
	v_add_f64 v[0:1], v[90:91], v[0:1]
	v_mul_f64 v[72:73], v[154:155], s[24:25]
	v_mul_f64 v[74:75], v[154:155], s[16:17]
	v_add_f64 v[76:77], v[132:133], -v[76:77]
	v_mul_f64 v[78:79], v[154:155], s[40:41]
	v_mul_f64 v[86:87], v[154:155], s[14:15]
	v_add_f64 v[84:85], v[126:127], -v[84:85]
	v_add_f64 v[90:91], v[144:145], -v[92:93]
	v_mul_f64 v[88:89], v[154:155], s[20:21]
	v_add_f64 v[92:93], v[140:141], -v[94:95]
	v_add_f64 v[16:17], v[18:19], v[16:17]
	v_mul_f64 v[18:19], v[154:155], s[22:23]
	v_add_f64 v[22:23], v[134:135], -v[22:23]
	v_add_f64 v[26:27], v[26:27], v[34:35]
	v_add_f64 v[34:35], v[80:81], v[36:37]
	;; [unrolled: 1-line block ×6, first 2 shown]
	v_add_f64 v[52:53], v[146:147], -v[74:75]
	v_add_f64 v[74:75], v[150:151], -v[86:87]
	v_add_f64 v[16:17], v[16:17], v[42:43]
	v_add_f64 v[18:19], v[136:137], -v[18:19]
	v_add_f64 v[42:43], v[142:143], -v[72:73]
	v_add_f64 v[22:23], v[22:23], v[26:27]
	v_add_f64 v[26:27], v[76:77], v[34:35]
	v_add_f64 v[34:35], v[82:83], v[36:37]
	v_add_f64 v[72:73], v[148:149], -v[78:79]
	v_add_f64 v[36:37], v[84:85], v[46:47]
	v_add_f64 v[46:47], v[90:91], v[50:51]
	v_add_f64 v[78:79], v[152:153], -v[88:89]
	v_add_f64 v[0:1], v[92:93], v[0:1]
	v_add_f64 v[16:17], v[16:17], v[40:41]
	v_mov_b32_e32 v40, 0x410
	v_mov_b32_e32 v41, 3
	v_add_f64 v[18:19], v[18:19], v[22:23]
	v_add_f64 v[22:23], v[42:43], v[26:27]
	v_add_f64 v[26:27], v[52:53], v[34:35]
	v_mul_u32_u24_sdwa v40, v65, v40 dst_sel:DWORD dst_unused:UNUSED_PAD src0_sel:WORD_0 src1_sel:DWORD
	v_add_f64 v[34:35], v[72:73], v[36:37]
	v_add_f64 v[36:37], v[74:75], v[46:47]
	v_lshlrev_b32_sdwa v41, v41, v157 dst_sel:DWORD dst_unused:UNUSED_PAD src0_sel:DWORD src1_sel:BYTE_0
	v_add_f64 v[0:1], v[78:79], v[0:1]
	v_add3_u32 v40, 0, v40, v41
	v_add_f64 v[16:17], v[16:17], v[48:49]
	ds_write2_b64 v40, v[70:71], v[68:69] offset0:80 offset1:90
	ds_write2_b64 v40, v[60:61], v[58:59] offset0:100 offset1:110
	;; [unrolled: 1-line block ×5, first 2 shown]
	ds_write2_b64 v40, v[16:17], v[18:19] offset1:10
	ds_write_b64 v40, v[56:57] offset:960
.LBB0_23:
	s_or_b32 exec_lo, exec_lo, s28
	s_waitcnt lgkmcnt(0)
	s_barrier
	buffer_gl0_inv
	ds_read_b64 v[0:1], v156
	ds_read_b64 v[46:47], v156 offset:2080
	ds_read_b64 v[36:37], v156 offset:4160
	;; [unrolled: 1-line block ×6, first 2 shown]
                                        ; implicit-def: $vgpr16_vgpr17
	s_and_saveexec_b32 s0, s1
	s_cbranch_execz .LBB0_25
; %bb.24:
	ds_read_b64 v[24:25], v156 offset:1456
	ds_read_b64 v[70:71], v156 offset:3536
	ds_read_b64 v[68:69], v156 offset:5616
	ds_read_b64 v[60:61], v156 offset:7696
	ds_read_b64 v[58:59], v156 offset:9776
	ds_read_b64 v[56:57], v156 offset:11856
	ds_read_b64 v[16:17], v156 offset:13936
.LBB0_25:
	s_or_b32 exec_lo, exec_lo, s0
	v_add_nc_u32_e32 v18, 0xffffff7e, v64
	v_cmp_gt_u32_e64 s0, 0x82, v64
	v_mov_b32_e32 v19, 0
	v_add_nc_u32_e32 v22, 0xb6, v64
	s_mov_b32 s6, 0x37e14327
	s_mov_b32 s14, 0xe976ee23
	v_cndmask_b32_e64 v23, v18, v64, s0
	s_mov_b32 s7, 0x3fe948f6
	s_mov_b32 s15, 0x3fe11646
	;; [unrolled: 1-line block ×4, first 2 shown]
	v_mul_i32_i24_e32 v18, 6, v23
	s_mov_b32 s9, 0xbfebfeb5
	s_mov_b32 s17, 0x3fac98ee
	;; [unrolled: 1-line block ×4, first 2 shown]
	v_lshlrev_b64 v[18:19], 4, v[18:19]
	s_mov_b32 s19, 0xbff2aaaa
	s_mov_b32 s20, 0x5476071b
	;; [unrolled: 1-line block ×5, first 2 shown]
	v_add_co_u32 v18, s0, s12, v18
	v_add_co_ci_u32_e64 v19, s0, s13, v19, s0
	s_mov_b32 s27, 0x3fd5d0dc
	s_mov_b32 s22, s20
	s_clause 0x5
	global_load_dwordx4 v[72:75], v[18:19], off offset:1920
	global_load_dwordx4 v[76:79], v[18:19], off offset:1936
	;; [unrolled: 1-line block ×6, first 2 shown]
	v_mov_b32_e32 v18, 0xfc1
	s_mov_b32 s26, s24
	s_mov_b32 s28, 0x37c3f68c
	;; [unrolled: 1-line block ×3, first 2 shown]
	v_cmp_lt_u32_e64 s0, 0x81, v64
	v_mul_u32_u24_sdwa v18, v22, v18 dst_sel:DWORD dst_unused:UNUSED_PAD src0_sel:WORD_0 src1_sel:DWORD
	v_lshrrev_b32_e32 v18, 19, v18
	v_mul_lo_u16 v18, 0x82, v18
	v_sub_nc_u16 v18, v22, v18
	v_and_b32_e32 v124, 0xffff, v18
	v_mul_u32_u24_e32 v18, 6, v124
	v_lshlrev_b32_e32 v18, 4, v18
	s_clause 0x5
	global_load_dwordx4 v[96:99], v18, s[12:13] offset:1920
	global_load_dwordx4 v[100:103], v18, s[12:13] offset:1936
	;; [unrolled: 1-line block ×6, first 2 shown]
	s_waitcnt vmcnt(0) lgkmcnt(0)
	s_barrier
	buffer_gl0_inv
	v_mul_f64 v[18:19], v[46:47], v[74:75]
	v_mul_f64 v[26:27], v[36:37], v[78:79]
	;; [unrolled: 1-line block ×12, first 2 shown]
	v_fma_f64 v[18:19], v[32:33], v[72:73], v[18:19]
	v_fma_f64 v[32:33], v[38:39], v[76:77], v[26:27]
	;; [unrolled: 1-line block ×4, first 2 shown]
	v_fma_f64 v[44:45], v[46:47], v[72:73], -v[74:75]
	v_fma_f64 v[36:37], v[36:37], v[76:77], -v[78:79]
	v_fma_f64 v[30:31], v[30:31], v[88:89], v[120:121]
	v_fma_f64 v[38:39], v[42:43], v[88:89], -v[90:91]
	v_fma_f64 v[28:29], v[28:29], v[92:93], v[122:123]
	v_fma_f64 v[42:43], v[50:51], v[84:85], -v[86:87]
	v_fma_f64 v[40:41], v[40:41], v[92:93], -v[94:95]
	;; [unrolled: 1-line block ×3, first 2 shown]
	v_mul_f64 v[88:89], v[60:61], v[106:107]
	v_mul_f64 v[90:91], v[10:11], v[106:107]
	;; [unrolled: 1-line block ×3, first 2 shown]
	v_add_f64 v[48:49], v[18:19], v[26:27]
	v_add_f64 v[50:51], v[32:33], v[34:35]
	v_mul_f64 v[94:95], v[8:9], v[110:111]
	v_mul_f64 v[106:107], v[16:17], v[118:119]
	;; [unrolled: 1-line block ×3, first 2 shown]
	v_add_f64 v[54:55], v[30:31], v[28:29]
	v_add_f64 v[52:53], v[36:37], -v[42:43]
	v_add_f64 v[72:73], v[40:41], -v[38:39]
	;; [unrolled: 1-line block ×3, first 2 shown]
	v_fma_f64 v[60:61], v[60:61], v[104:105], -v[90:91]
	v_add_f64 v[76:77], v[50:51], v[48:49]
	v_fma_f64 v[58:59], v[58:59], v[108:109], -v[94:95]
	v_add_f64 v[78:79], v[48:49], -v[54:55]
	v_add_f64 v[80:81], v[72:73], -v[52:53]
	;; [unrolled: 1-line block ×3, first 2 shown]
	v_add_f64 v[52:53], v[72:73], v[52:53]
	v_add_f64 v[72:73], v[74:75], -v[72:73]
	v_add_f64 v[76:77], v[54:55], v[76:77]
	v_add_f64 v[54:55], v[54:55], -v[50:51]
	v_mul_f64 v[78:79], v[78:79], s[6:7]
	v_mul_f64 v[80:81], v[80:81], s[14:15]
	;; [unrolled: 1-line block ×3, first 2 shown]
	v_add_f64 v[86:87], v[20:21], v[76:77]
	v_add_f64 v[20:21], v[50:51], -v[48:49]
	v_mul_f64 v[48:49], v[54:55], s[16:17]
	v_add_f64 v[50:51], v[52:53], v[74:75]
	v_fma_f64 v[52:53], v[54:55], s[16:17], v[78:79]
	v_fma_f64 v[54:55], v[72:73], s[24:25], v[80:81]
	v_fma_f64 v[74:75], v[82:83], s[8:9], -v[80:81]
	v_fma_f64 v[72:73], v[72:73], s[26:27], -v[84:85]
	v_mul_f64 v[80:81], v[14:15], v[98:99]
	v_mul_f64 v[82:83], v[68:69], v[102:103]
	;; [unrolled: 1-line block ×4, first 2 shown]
	v_fma_f64 v[76:77], v[76:77], s[18:19], v[86:87]
	v_fma_f64 v[78:79], v[20:21], s[22:23], -v[78:79]
	v_fma_f64 v[20:21], v[20:21], s[20:21], -v[48:49]
	v_mul_f64 v[48:49], v[70:71], v[98:99]
	v_mul_f64 v[98:99], v[56:57], v[114:115]
	v_fma_f64 v[114:115], v[50:51], s[28:29], v[54:55]
	v_fma_f64 v[118:119], v[50:51], s[28:29], v[74:75]
	;; [unrolled: 1-line block ×3, first 2 shown]
	v_fma_f64 v[54:55], v[70:71], v[96:97], -v[80:81]
	v_fma_f64 v[50:51], v[10:11], v[104:105], v[88:89]
	v_fma_f64 v[68:69], v[68:69], v[100:101], -v[84:85]
	v_fma_f64 v[72:73], v[56:57], v[112:113], -v[102:103]
	v_fma_f64 v[56:57], v[4:5], v[116:117], v[106:107]
	v_fma_f64 v[74:75], v[16:17], v[116:117], -v[110:111]
	v_cndmask_b32_e64 v16, 0, 0x1c70, s0
	v_lshlrev_b32_e32 v17, 3, v23
	v_lshl_add_u32 v23, v124, 3, 0
	v_add3_u32 v65, 0, v16, v17
	v_add_f64 v[122:123], v[52:53], v[76:77]
	v_add_f64 v[78:79], v[78:79], v[76:77]
	;; [unrolled: 1-line block ×3, first 2 shown]
	v_fma_f64 v[20:21], v[14:15], v[96:97], v[48:49]
	v_fma_f64 v[48:49], v[12:13], v[100:101], v[82:83]
	;; [unrolled: 1-line block ×4, first 2 shown]
	v_add_f64 v[4:5], v[114:115], v[122:123]
	v_add_f64 v[6:7], v[120:121], v[78:79]
	v_add_f64 v[8:9], v[76:77], -v[118:119]
	v_add_f64 v[10:11], v[118:119], v[76:77]
	v_add_f64 v[12:13], v[78:79], -v[120:121]
	v_add_f64 v[14:15], v[122:123], -v[114:115]
	v_add_nc_u32_e32 v76, 0x800, v65
	v_add_nc_u32_e32 v77, 0x1000, v65
	ds_write2_b64 v65, v[86:87], v[4:5] offset1:130
	ds_write2_b64 v76, v[6:7], v[8:9] offset0:4 offset1:134
	ds_write2_b64 v77, v[10:11], v[12:13] offset0:8 offset1:138
	ds_write_b64 v65, v[14:15] offset:6240
	s_and_saveexec_b32 s0, s1
	s_cbranch_execz .LBB0_27
; %bb.26:
	v_add_f64 v[4:5], v[48:49], v[70:71]
	v_add_f64 v[6:7], v[20:21], v[56:57]
	v_add_f64 v[8:9], v[58:59], -v[60:61]
	v_add_f64 v[10:11], v[68:69], -v[72:73]
	v_add_f64 v[12:13], v[50:51], v[52:53]
	v_add_f64 v[14:15], v[54:55], -v[74:75]
	v_add_f64 v[16:17], v[4:5], v[6:7]
	v_add_f64 v[78:79], v[8:9], -v[10:11]
	v_add_f64 v[80:81], v[6:7], -v[12:13]
	;; [unrolled: 1-line block ×3, first 2 shown]
	v_add_f64 v[10:11], v[8:9], v[10:11]
	v_add_f64 v[8:9], v[14:15], -v[8:9]
	v_add_f64 v[16:17], v[12:13], v[16:17]
	v_add_f64 v[12:13], v[12:13], -v[4:5]
	v_add_f64 v[4:5], v[4:5], -v[6:7]
	v_mul_f64 v[6:7], v[78:79], s[14:15]
	v_mul_f64 v[78:79], v[80:81], s[6:7]
	;; [unrolled: 1-line block ×3, first 2 shown]
	v_add_f64 v[10:11], v[10:11], v[14:15]
	v_add_f64 v[2:3], v[2:3], v[16:17]
	v_mul_f64 v[84:85], v[12:13], s[16:17]
	v_fma_f64 v[14:15], v[8:9], s[24:25], v[6:7]
	v_fma_f64 v[12:13], v[12:13], s[16:17], v[78:79]
	v_fma_f64 v[86:87], v[4:5], s[22:23], -v[78:79]
	v_fma_f64 v[8:9], v[8:9], s[26:27], -v[80:81]
	;; [unrolled: 1-line block ×3, first 2 shown]
	v_fma_f64 v[16:17], v[16:17], s[18:19], v[2:3]
	v_fma_f64 v[4:5], v[4:5], s[20:21], -v[84:85]
	v_fma_f64 v[14:15], v[10:11], s[28:29], v[14:15]
	v_fma_f64 v[8:9], v[10:11], s[28:29], v[8:9]
	;; [unrolled: 1-line block ×3, first 2 shown]
	v_add_f64 v[12:13], v[12:13], v[16:17]
	v_add_f64 v[10:11], v[86:87], v[16:17]
	;; [unrolled: 1-line block ×4, first 2 shown]
	v_add_f64 v[16:17], v[10:11], -v[8:9]
	v_add_f64 v[78:79], v[4:5], -v[6:7]
	v_add_f64 v[8:9], v[8:9], v[10:11]
	v_add_f64 v[4:5], v[6:7], v[4:5]
	v_add_f64 v[6:7], v[12:13], -v[14:15]
	v_add_nc_u32_e32 v10, 0x1c00, v23
	v_add_nc_u32_e32 v11, 0x2400, v23
	;; [unrolled: 1-line block ×3, first 2 shown]
	ds_write2_b64 v10, v[2:3], v[80:81] offset0:14 offset1:144
	ds_write2_b64 v11, v[8:9], v[78:79] offset0:18 offset1:148
	;; [unrolled: 1-line block ×3, first 2 shown]
	ds_write_b64 v23, v[6:7] offset:13520
.LBB0_27:
	s_or_b32 exec_lo, exec_lo, s0
	v_add_f64 v[2:3], v[44:45], v[46:47]
	v_add_f64 v[4:5], v[36:37], v[42:43]
	v_add_f64 v[6:7], v[32:33], -v[34:35]
	v_add_f64 v[8:9], v[38:39], v[40:41]
	v_add_f64 v[10:11], v[28:29], -v[30:31]
	v_add_f64 v[12:13], v[18:19], -v[26:27]
	v_add_nc_u32_e32 v40, 0x2000, v156
	v_add_nc_u32_e32 v41, 0xa00, v156
	;; [unrolled: 1-line block ×3, first 2 shown]
	s_waitcnt lgkmcnt(0)
	s_barrier
	buffer_gl0_inv
	v_add_f64 v[14:15], v[4:5], v[2:3]
	v_add_f64 v[16:17], v[2:3], -v[8:9]
	v_add_f64 v[18:19], v[10:11], -v[6:7]
	;; [unrolled: 1-line block ×3, first 2 shown]
	v_add_f64 v[6:7], v[10:11], v[6:7]
	v_add_f64 v[10:11], v[12:13], -v[10:11]
	v_add_f64 v[14:15], v[8:9], v[14:15]
	v_add_f64 v[8:9], v[8:9], -v[4:5]
	v_mul_f64 v[16:17], v[16:17], s[6:7]
	v_mul_f64 v[18:19], v[18:19], s[14:15]
	;; [unrolled: 1-line block ×3, first 2 shown]
	v_add_f64 v[30:31], v[0:1], v[14:15]
	v_add_f64 v[0:1], v[4:5], -v[2:3]
	v_mul_f64 v[2:3], v[8:9], s[16:17]
	v_add_f64 v[4:5], v[6:7], v[12:13]
	v_fma_f64 v[6:7], v[8:9], s[16:17], v[16:17]
	v_fma_f64 v[8:9], v[10:11], s[24:25], v[18:19]
	v_fma_f64 v[12:13], v[26:27], s[8:9], -v[18:19]
	v_fma_f64 v[10:11], v[10:11], s[26:27], -v[28:29]
	v_fma_f64 v[14:15], v[14:15], s[18:19], v[30:31]
	v_fma_f64 v[16:17], v[0:1], s[22:23], -v[16:17]
	v_fma_f64 v[0:1], v[0:1], s[20:21], -v[2:3]
	v_fma_f64 v[18:19], v[4:5], s[28:29], v[8:9]
	v_fma_f64 v[12:13], v[4:5], s[28:29], v[12:13]
	;; [unrolled: 1-line block ×3, first 2 shown]
	v_add_nc_u32_e32 v8, 0x1600, v156
	ds_read2_b64 v[8:11], v8 offset0:24 offset1:206
	v_add_f64 v[6:7], v[6:7], v[14:15]
	v_add_f64 v[16:17], v[16:17], v[14:15]
	;; [unrolled: 1-line block ×3, first 2 shown]
	ds_read2_b64 v[0:3], v156 offset1:182
	v_add_f64 v[26:27], v[6:7], -v[18:19]
	v_add_f64 v[28:29], v[16:17], -v[4:5]
	v_add_f64 v[32:33], v[12:13], v[14:15]
	v_add_f64 v[34:35], v[14:15], -v[12:13]
	v_add_f64 v[36:37], v[4:5], v[16:17]
	v_add_f64 v[38:39], v[18:19], v[6:7]
	ds_read2_b64 v[12:15], v40 offset0:68 offset1:250
	ds_read2_b64 v[4:7], v41 offset0:44 offset1:226
	;; [unrolled: 1-line block ×3, first 2 shown]
	s_waitcnt lgkmcnt(0)
	s_barrier
	buffer_gl0_inv
	ds_write2_b64 v65, v[30:31], v[26:27] offset1:130
	ds_write2_b64 v76, v[28:29], v[32:33] offset0:4 offset1:134
	ds_write2_b64 v77, v[34:35], v[36:37] offset0:8 offset1:138
	ds_write_b64 v65, v[38:39] offset:6240
	s_and_saveexec_b32 s0, s1
	s_cbranch_execz .LBB0_29
; %bb.28:
	v_add_f64 v[26:27], v[54:55], v[74:75]
	v_add_f64 v[28:29], v[68:69], v[72:73]
	;; [unrolled: 1-line block ×3, first 2 shown]
	v_add_f64 v[32:33], v[48:49], -v[70:71]
	v_add_f64 v[34:35], v[52:53], -v[50:51]
	;; [unrolled: 1-line block ×3, first 2 shown]
	s_mov_b32 s8, 0x36b3c0b5
	s_mov_b32 s9, 0x3fac98ee
	s_mov_b32 s17, 0x3fe77f67
	s_mov_b32 s16, 0x5476071b
	s_mov_b32 s19, 0xbfd5d0dc
	s_mov_b32 s18, 0xb247c609
	v_add_f64 v[36:37], v[28:29], v[26:27]
	v_add_f64 v[38:39], v[26:27], -v[30:31]
	v_add_f64 v[40:41], v[30:31], -v[28:29]
	;; [unrolled: 1-line block ×5, first 2 shown]
	v_add_f64 v[28:29], v[34:35], v[32:33]
	v_add_f64 v[32:33], v[20:21], -v[34:35]
	v_add_f64 v[30:31], v[30:31], v[36:37]
	v_mul_f64 v[34:35], v[38:39], s[6:7]
	s_mov_b32 s6, 0x429ad128
	v_mul_f64 v[36:37], v[40:41], s[8:9]
	v_mul_f64 v[38:39], v[42:43], s[14:15]
	s_mov_b32 s7, 0xbfebfeb5
	s_mov_b32 s14, 0xaaaaaaaa
	v_mul_f64 v[42:43], v[44:45], s[6:7]
	s_mov_b32 s15, 0xbff2aaaa
	v_add_f64 v[20:21], v[28:29], v[20:21]
	v_add_f64 v[24:25], v[24:25], v[30:31]
	v_fma_f64 v[28:29], v[40:41], s[8:9], v[34:35]
	v_fma_f64 v[36:37], v[26:27], s[16:17], -v[36:37]
	s_mov_b32 s17, 0xbfe77f67
	v_fma_f64 v[40:41], v[32:33], s[18:19], v[38:39]
	s_mov_b32 s19, 0x3fd5d0dc
	v_fma_f64 v[38:39], v[44:45], s[6:7], -v[38:39]
	v_fma_f64 v[32:33], v[32:33], s[18:19], -v[42:43]
	;; [unrolled: 1-line block ×3, first 2 shown]
	s_mov_b32 s6, 0x37c3f68c
	s_mov_b32 s7, 0xbfdc38aa
	v_fma_f64 v[30:31], v[30:31], s[14:15], v[24:25]
	v_fma_f64 v[34:35], v[20:21], s[6:7], v[40:41]
	v_fma_f64 v[38:39], v[20:21], s[6:7], v[38:39]
	v_fma_f64 v[20:21], v[20:21], s[6:7], v[32:33]
	v_add_f64 v[28:29], v[28:29], v[30:31]
	v_add_f64 v[26:27], v[26:27], v[30:31]
	;; [unrolled: 1-line block ×3, first 2 shown]
	v_add_f64 v[32:33], v[28:29], -v[34:35]
	v_add_f64 v[36:37], v[26:27], -v[20:21]
	v_add_f64 v[40:41], v[38:39], v[30:31]
	v_add_f64 v[30:31], v[30:31], -v[38:39]
	v_add_f64 v[20:21], v[20:21], v[26:27]
	v_add_f64 v[26:27], v[34:35], v[28:29]
	v_add_nc_u32_e32 v28, 0x1c00, v23
	v_add_nc_u32_e32 v29, 0x2400, v23
	;; [unrolled: 1-line block ×3, first 2 shown]
	ds_write2_b64 v28, v[24:25], v[32:33] offset0:14 offset1:144
	ds_write2_b64 v29, v[36:37], v[40:41] offset0:18 offset1:148
	;; [unrolled: 1-line block ×3, first 2 shown]
	ds_write_b64 v23, v[26:27] offset:13520
.LBB0_29:
	s_or_b32 exec_lo, exec_lo, s0
	s_waitcnt lgkmcnt(0)
	s_barrier
	buffer_gl0_inv
	s_and_saveexec_b32 s0, vcc_lo
	s_cbranch_execz .LBB0_31
; %bb.30:
	v_mov_b32_e32 v21, 0
	v_add_nc_u32_e32 v20, 0x2d8, v64
	v_add_nc_u32_e32 v23, 0x222, v64
	;; [unrolled: 1-line block ×3, first 2 shown]
	v_mul_lo_u32 v52, s5, v66
	v_mov_b32_e32 v24, v21
	v_lshlrev_b64 v[25:26], 4, v[20:21]
	v_mov_b32_e32 v28, v21
	v_mov_b32_e32 v65, v21
	v_mad_u64_u32 v[60:61], null, s4, v66, 0
	v_lshlrev_b64 v[23:24], 4, v[23:24]
	v_add_co_u32 v20, vcc_lo, s12, v25
	v_add_co_ci_u32_e32 v25, vcc_lo, s13, v26, vcc_lo
	v_lshlrev_b64 v[32:33], 4, v[27:28]
	v_add_co_u32 v23, vcc_lo, s12, v23
	v_add_co_ci_u32_e32 v26, vcc_lo, s13, v24, vcc_lo
	v_add_co_u32 v24, vcc_lo, 0x3800, v20
	v_add_co_ci_u32_e32 v25, vcc_lo, 0, v25, vcc_lo
	v_add_co_u32 v29, vcc_lo, 0x3800, v23
	v_mov_b32_e32 v23, v21
	v_add_co_ci_u32_e32 v30, vcc_lo, 0, v26, vcc_lo
	v_add_co_u32 v34, vcc_lo, s12, v32
	v_lshlrev_b64 v[22:23], 4, v[22:23]
	v_lshlrev_b64 v[20:21], 4, v[64:65]
	v_add_co_ci_u32_e32 v35, vcc_lo, s13, v33, vcc_lo
	s_clause 0x1
	global_load_dwordx4 v[24:27], v[24:25], off offset:64
	global_load_dwordx4 v[28:31], v[29:30], off offset:64
	v_lshrrev_b32_e32 v55, 1, v64
	v_add_co_u32 v22, vcc_lo, s12, v22
	v_add_co_ci_u32_e32 v23, vcc_lo, s13, v23, vcc_lo
	v_add_co_u32 v20, vcc_lo, s12, v20
	v_add_co_ci_u32_e32 v21, vcc_lo, s13, v21, vcc_lo
	;; [unrolled: 2-line block ×5, first 2 shown]
	s_clause 0x2
	global_load_dwordx4 v[20:23], v[20:21], off offset:64
	global_load_dwordx4 v[32:35], v[32:33], off offset:64
	;; [unrolled: 1-line block ×3, first 2 shown]
	v_add_nc_u32_e32 v65, 0xb6, v64
	v_add_nc_u32_e32 v66, 0x16c, v64
	v_mul_lo_u32 v53, s4, v67
	v_add_nc_u32_e32 v67, 0x222, v64
	v_add_nc_u32_e32 v68, 0x2d8, v64
	v_mul_hi_u32 v55, 0x90090091, v55
	v_lshrrev_b32_e32 v57, 1, v65
	v_lshrrev_b32_e32 v58, 1, v66
	;; [unrolled: 1-line block ×4, first 2 shown]
	v_add3_u32 v61, v61, v53, v52
	v_mul_hi_u32 v70, 0x90090091, v57
	v_mul_hi_u32 v71, 0x90090091, v58
	v_mul_hi_u32 v72, 0x90090091, v59
	v_mul_hi_u32 v69, 0x90090091, v69
	v_lshrrev_b32_e32 v73, 8, v55
	v_lshlrev_b64 v[60:61], 4, v[60:61]
	v_lshlrev_b64 v[62:63], 4, v[62:63]
	v_add_nc_u32_e32 v44, 0x1600, v156
	v_lshrrev_b32_e32 v70, 8, v70
	v_mul_u32_u24_e32 v73, 0x38e, v73
	v_lshrrev_b32_e32 v71, 8, v71
	v_lshrrev_b32_e32 v72, 8, v72
	;; [unrolled: 1-line block ×3, first 2 shown]
	v_add_co_u32 v60, vcc_lo, s10, v60
	v_sub_nc_u32_e32 v73, v64, v73
	v_mul_u32_u24_e32 v64, 0x38e, v70
	v_mul_u32_u24_e32 v74, 0x38e, v71
	;; [unrolled: 1-line block ×4, first 2 shown]
	v_add_co_ci_u32_e32 v61, vcc_lo, s11, v61, vcc_lo
	v_sub_nc_u32_e32 v64, v65, v64
	v_sub_nc_u32_e32 v65, v66, v74
	;; [unrolled: 1-line block ×3, first 2 shown]
	v_add_nc_u32_e32 v81, 0x38e, v73
	v_sub_nc_u32_e32 v67, v68, v76
	v_add_co_u32 v94, vcc_lo, v60, v62
	v_mad_u32_u24 v83, 0x71c, v70, v64
	v_mad_u32_u24 v84, 0x71c, v71, v65
	;; [unrolled: 1-line block ×3, first 2 shown]
	v_add_nc_u32_e32 v48, 0x2c00, v156
	v_add_co_ci_u32_e32 v95, vcc_lo, v61, v63, vcc_lo
	v_mad_u64_u32 v[60:61], null, s2, v73, 0
	v_mad_u64_u32 v[62:63], null, s2, v81, 0
	v_mad_u32_u24 v86, 0x71c, v69, v67
	v_add_nc_u32_e32 v54, 0xa00, v156
	v_add_nc_u32_e32 v56, 0x2000, v156
	v_mad_u64_u32 v[64:65], null, s2, v83, 0
	v_mad_u64_u32 v[66:67], null, s2, v84, 0
	v_add_nc_u32_e32 v88, 0x38e, v84
	ds_read2_b64 v[40:43], v156 offset1:182
	ds_read2_b64 v[44:47], v44 offset0:24 offset1:206
	ds_read2_b64 v[48:51], v48 offset0:48 offset1:230
	v_add_nc_u32_e32 v87, 0x38e, v83
	v_mad_u64_u32 v[68:69], null, s2, v85, 0
	v_add_nc_u32_e32 v89, 0x38e, v85
	v_mad_u64_u32 v[70:71], null, s2, v86, 0
	v_add_nc_u32_e32 v90, 0x38e, v86
	ds_read2_b64 v[52:55], v54 offset0:44 offset1:226
	ds_read2_b64 v[56:59], v56 offset0:68 offset1:250
	v_mad_u64_u32 v[72:73], null, s3, v73, v[61:62]
	v_mad_u64_u32 v[75:76], null, s2, v88, 0
	v_mov_b32_e32 v61, v63
	v_mad_u64_u32 v[73:74], null, s2, v87, 0
	v_mad_u64_u32 v[77:78], null, s2, v89, 0
	;; [unrolled: 1-line block ×3, first 2 shown]
	v_mov_b32_e32 v63, v65
	v_mov_b32_e32 v65, v67
	;; [unrolled: 1-line block ×4, first 2 shown]
	v_mad_u64_u32 v[81:82], null, s3, v81, v[61:62]
	v_mov_b32_e32 v61, v72
	v_mad_u64_u32 v[71:72], null, s3, v83, v[63:64]
	v_mad_u64_u32 v[82:83], null, s3, v84, v[65:66]
	v_mov_b32_e32 v65, v76
	v_mov_b32_e32 v72, v74
	v_mad_u64_u32 v[83:84], null, s3, v85, v[67:68]
	v_mov_b32_e32 v67, v78
	v_mad_u64_u32 v[84:85], null, s3, v86, v[69:70]
	;; [unrolled: 2-line block ×4, first 2 shown]
	v_mad_u64_u32 v[86:87], null, s3, v89, v[67:68]
	v_mad_u64_u32 v[87:88], null, s3, v90, v[69:70]
	v_mov_b32_e32 v67, v82
	v_mov_b32_e32 v65, v71
	v_mov_b32_e32 v69, v83
	v_mov_b32_e32 v71, v84
	v_lshlrev_b64 v[60:61], 4, v[60:61]
	v_lshlrev_b64 v[62:63], 4, v[62:63]
	;; [unrolled: 1-line block ×5, first 2 shown]
	v_mov_b32_e32 v74, v80
	v_add_co_u32 v60, vcc_lo, v94, v60
	v_add_co_ci_u32_e32 v61, vcc_lo, v95, v61, vcc_lo
	v_lshlrev_b64 v[70:71], 4, v[70:71]
	v_mov_b32_e32 v76, v85
	v_mov_b32_e32 v78, v86
	;; [unrolled: 1-line block ×3, first 2 shown]
	s_waitcnt vmcnt(4)
	v_mul_f64 v[81:82], v[18:19], v[26:27]
	s_waitcnt lgkmcnt(2)
	v_mul_f64 v[26:27], v[50:51], v[26:27]
	s_waitcnt vmcnt(3)
	v_mul_f64 v[83:84], v[16:17], v[30:31]
	v_mul_f64 v[30:31], v[48:49], v[30:31]
	s_waitcnt vmcnt(2)
	v_mul_f64 v[88:89], v[10:11], v[22:23]
	;; [unrolled: 3-line block ×3, first 2 shown]
	s_waitcnt lgkmcnt(0)
	v_mul_f64 v[34:35], v[56:57], v[34:35]
	s_waitcnt vmcnt(0)
	v_mul_f64 v[92:93], v[14:15], v[38:39]
	v_mul_f64 v[38:39], v[58:59], v[38:39]
	v_fma_f64 v[18:19], v[18:19], v[24:25], v[26:27]
	v_fma_f64 v[50:51], v[50:51], v[24:25], -v[81:82]
	v_fma_f64 v[24:25], v[48:49], v[28:29], -v[83:84]
	v_fma_f64 v[30:31], v[16:17], v[28:29], v[30:31]
	v_add_co_u32 v48, vcc_lo, v94, v62
	v_add_co_ci_u32_e32 v49, vcc_lo, v95, v63, vcc_lo
	v_add_co_u32 v64, vcc_lo, v94, v64
	v_add_co_ci_u32_e32 v65, vcc_lo, v95, v65, vcc_lo
	v_lshlrev_b64 v[62:63], 4, v[77:78]
	v_fma_f64 v[26:27], v[46:47], v[20:21], -v[88:89]
	v_fma_f64 v[22:23], v[10:11], v[20:21], v[22:23]
	v_fma_f64 v[46:47], v[56:57], v[32:33], -v[90:91]
	v_fma_f64 v[32:33], v[12:13], v[32:33], v[34:35]
	v_fma_f64 v[34:35], v[58:59], v[36:37], -v[92:93]
	v_fma_f64 v[14:15], v[14:15], v[36:37], v[38:39]
	v_add_f64 v[10:11], v[8:9], -v[18:19]
	v_add_f64 v[12:13], v[44:45], -v[50:51]
	;; [unrolled: 1-line block ×3, first 2 shown]
	v_lshlrev_b64 v[56:57], 4, v[73:74]
	v_lshlrev_b64 v[58:59], 4, v[75:76]
	v_lshlrev_b64 v[72:73], 4, v[79:80]
	v_add_f64 v[20:21], v[40:41], -v[26:27]
	v_add_f64 v[18:19], v[0:1], -v[22:23]
	;; [unrolled: 1-line block ×7, first 2 shown]
	v_add_co_u32 v46, vcc_lo, v94, v66
	v_add_co_ci_u32_e32 v47, vcc_lo, v95, v67, vcc_lo
	v_add_co_u32 v50, vcc_lo, v94, v68
	v_fma_f64 v[30:31], v[8:9], 2.0, -v[10:11]
	v_fma_f64 v[8:9], v[54:55], 2.0, -v[16:17]
	v_add_co_ci_u32_e32 v51, vcc_lo, v95, v69, vcc_lo
	v_add_co_u32 v66, vcc_lo, v94, v70
	v_fma_f64 v[32:33], v[44:45], 2.0, -v[12:13]
	v_add_co_ci_u32_e32 v67, vcc_lo, v95, v71, vcc_lo
	v_fma_f64 v[36:37], v[40:41], 2.0, -v[20:21]
	v_fma_f64 v[34:35], v[0:1], 2.0, -v[18:19]
	;; [unrolled: 1-line block ×7, first 2 shown]
	v_add_co_u32 v4, vcc_lo, v94, v56
	v_add_co_ci_u32_e32 v5, vcc_lo, v95, v57, vcc_lo
	v_add_co_u32 v42, vcc_lo, v94, v58
	v_add_co_ci_u32_e32 v43, vcc_lo, v95, v59, vcc_lo
	v_add_co_u32 v44, vcc_lo, v94, v62
	v_add_co_ci_u32_e32 v45, vcc_lo, v95, v63, vcc_lo
	v_add_co_u32 v52, vcc_lo, v94, v72
	v_add_co_ci_u32_e32 v53, vcc_lo, v95, v73, vcc_lo
	global_store_dwordx4 v[60:61], v[34:37], off
	global_store_dwordx4 v[48:49], v[18:21], off
	;; [unrolled: 1-line block ×10, first 2 shown]
.LBB0_31:
	s_endpgm
	.section	.rodata,"a",@progbits
	.p2align	6, 0x0
	.amdhsa_kernel fft_rtc_back_len1820_factors_10_13_7_2_wgs_182_tpt_182_halfLds_dp_op_CI_CI_sbrr_dirReg
		.amdhsa_group_segment_fixed_size 0
		.amdhsa_private_segment_fixed_size 0
		.amdhsa_kernarg_size 104
		.amdhsa_user_sgpr_count 6
		.amdhsa_user_sgpr_private_segment_buffer 1
		.amdhsa_user_sgpr_dispatch_ptr 0
		.amdhsa_user_sgpr_queue_ptr 0
		.amdhsa_user_sgpr_kernarg_segment_ptr 1
		.amdhsa_user_sgpr_dispatch_id 0
		.amdhsa_user_sgpr_flat_scratch_init 0
		.amdhsa_user_sgpr_private_segment_size 0
		.amdhsa_wavefront_size32 1
		.amdhsa_uses_dynamic_stack 0
		.amdhsa_system_sgpr_private_segment_wavefront_offset 0
		.amdhsa_system_sgpr_workgroup_id_x 1
		.amdhsa_system_sgpr_workgroup_id_y 0
		.amdhsa_system_sgpr_workgroup_id_z 0
		.amdhsa_system_sgpr_workgroup_info 0
		.amdhsa_system_vgpr_workitem_id 0
		.amdhsa_next_free_vgpr 182
		.amdhsa_next_free_sgpr 48
		.amdhsa_reserve_vcc 1
		.amdhsa_reserve_flat_scratch 0
		.amdhsa_float_round_mode_32 0
		.amdhsa_float_round_mode_16_64 0
		.amdhsa_float_denorm_mode_32 3
		.amdhsa_float_denorm_mode_16_64 3
		.amdhsa_dx10_clamp 1
		.amdhsa_ieee_mode 1
		.amdhsa_fp16_overflow 0
		.amdhsa_workgroup_processor_mode 1
		.amdhsa_memory_ordered 1
		.amdhsa_forward_progress 0
		.amdhsa_shared_vgpr_count 0
		.amdhsa_exception_fp_ieee_invalid_op 0
		.amdhsa_exception_fp_denorm_src 0
		.amdhsa_exception_fp_ieee_div_zero 0
		.amdhsa_exception_fp_ieee_overflow 0
		.amdhsa_exception_fp_ieee_underflow 0
		.amdhsa_exception_fp_ieee_inexact 0
		.amdhsa_exception_int_div_zero 0
	.end_amdhsa_kernel
	.text
.Lfunc_end0:
	.size	fft_rtc_back_len1820_factors_10_13_7_2_wgs_182_tpt_182_halfLds_dp_op_CI_CI_sbrr_dirReg, .Lfunc_end0-fft_rtc_back_len1820_factors_10_13_7_2_wgs_182_tpt_182_halfLds_dp_op_CI_CI_sbrr_dirReg
                                        ; -- End function
	.section	.AMDGPU.csdata,"",@progbits
; Kernel info:
; codeLenInByte = 13204
; NumSgprs: 50
; NumVgprs: 182
; ScratchSize: 0
; MemoryBound: 1
; FloatMode: 240
; IeeeMode: 1
; LDSByteSize: 0 bytes/workgroup (compile time only)
; SGPRBlocks: 6
; VGPRBlocks: 22
; NumSGPRsForWavesPerEU: 50
; NumVGPRsForWavesPerEU: 182
; Occupancy: 5
; WaveLimiterHint : 1
; COMPUTE_PGM_RSRC2:SCRATCH_EN: 0
; COMPUTE_PGM_RSRC2:USER_SGPR: 6
; COMPUTE_PGM_RSRC2:TRAP_HANDLER: 0
; COMPUTE_PGM_RSRC2:TGID_X_EN: 1
; COMPUTE_PGM_RSRC2:TGID_Y_EN: 0
; COMPUTE_PGM_RSRC2:TGID_Z_EN: 0
; COMPUTE_PGM_RSRC2:TIDIG_COMP_CNT: 0
	.text
	.p2alignl 6, 3214868480
	.fill 48, 4, 3214868480
	.type	__hip_cuid_bc433c32252f1e8,@object ; @__hip_cuid_bc433c32252f1e8
	.section	.bss,"aw",@nobits
	.globl	__hip_cuid_bc433c32252f1e8
__hip_cuid_bc433c32252f1e8:
	.byte	0                               ; 0x0
	.size	__hip_cuid_bc433c32252f1e8, 1

	.ident	"AMD clang version 19.0.0git (https://github.com/RadeonOpenCompute/llvm-project roc-6.4.0 25133 c7fe45cf4b819c5991fe208aaa96edf142730f1d)"
	.section	".note.GNU-stack","",@progbits
	.addrsig
	.addrsig_sym __hip_cuid_bc433c32252f1e8
	.amdgpu_metadata
---
amdhsa.kernels:
  - .args:
      - .actual_access:  read_only
        .address_space:  global
        .offset:         0
        .size:           8
        .value_kind:     global_buffer
      - .offset:         8
        .size:           8
        .value_kind:     by_value
      - .actual_access:  read_only
        .address_space:  global
        .offset:         16
        .size:           8
        .value_kind:     global_buffer
      - .actual_access:  read_only
        .address_space:  global
        .offset:         24
        .size:           8
        .value_kind:     global_buffer
      - .actual_access:  read_only
        .address_space:  global
        .offset:         32
        .size:           8
        .value_kind:     global_buffer
      - .offset:         40
        .size:           8
        .value_kind:     by_value
      - .actual_access:  read_only
        .address_space:  global
        .offset:         48
        .size:           8
        .value_kind:     global_buffer
      - .actual_access:  read_only
        .address_space:  global
        .offset:         56
        .size:           8
        .value_kind:     global_buffer
      - .offset:         64
        .size:           4
        .value_kind:     by_value
      - .actual_access:  read_only
        .address_space:  global
        .offset:         72
        .size:           8
        .value_kind:     global_buffer
      - .actual_access:  read_only
        .address_space:  global
        .offset:         80
        .size:           8
        .value_kind:     global_buffer
      - .actual_access:  read_only
        .address_space:  global
        .offset:         88
        .size:           8
        .value_kind:     global_buffer
      - .actual_access:  write_only
        .address_space:  global
        .offset:         96
        .size:           8
        .value_kind:     global_buffer
    .group_segment_fixed_size: 0
    .kernarg_segment_align: 8
    .kernarg_segment_size: 104
    .language:       OpenCL C
    .language_version:
      - 2
      - 0
    .max_flat_workgroup_size: 182
    .name:           fft_rtc_back_len1820_factors_10_13_7_2_wgs_182_tpt_182_halfLds_dp_op_CI_CI_sbrr_dirReg
    .private_segment_fixed_size: 0
    .sgpr_count:     50
    .sgpr_spill_count: 0
    .symbol:         fft_rtc_back_len1820_factors_10_13_7_2_wgs_182_tpt_182_halfLds_dp_op_CI_CI_sbrr_dirReg.kd
    .uniform_work_group_size: 1
    .uses_dynamic_stack: false
    .vgpr_count:     182
    .vgpr_spill_count: 0
    .wavefront_size: 32
    .workgroup_processor_mode: 1
amdhsa.target:   amdgcn-amd-amdhsa--gfx1030
amdhsa.version:
  - 1
  - 2
...

	.end_amdgpu_metadata
